;; amdgpu-corpus repo=ggml-org/llama.cpp kind=compiled arch=gfx906 opt=O3
	.amdgcn_target "amdgcn-amd-amdhsa--gfx906"
	.amdhsa_code_object_version 6
	.section	.text._ZL21gated_linear_attn_f32ILi64EEviiiifPKfS1_S1_S1_S1_Pf,"axG",@progbits,_ZL21gated_linear_attn_f32ILi64EEviiiifPKfS1_S1_S1_S1_Pf,comdat
	.globl	_ZL21gated_linear_attn_f32ILi64EEviiiifPKfS1_S1_S1_S1_Pf ; -- Begin function _ZL21gated_linear_attn_f32ILi64EEviiiifPKfS1_S1_S1_S1_Pf
	.p2align	8
	.type	_ZL21gated_linear_attn_f32ILi64EEviiiifPKfS1_S1_S1_S1_Pf,@function
_ZL21gated_linear_attn_f32ILi64EEviiiifPKfS1_S1_S1_S1_Pf: ; @_ZL21gated_linear_attn_f32ILi64EEviiiifPKfS1_S1_S1_S1_Pf
; %bb.0:
	s_mov_b64 s[22:23], s[2:3]
	s_mov_b64 s[20:21], s[0:1]
	s_load_dwordx4 s[16:19], s[4:5], 0x0
	s_load_dwordx4 s[0:3], s[4:5], 0x38
	s_add_u32 s20, s20, s7
	s_addc_u32 s21, s21, 0
	v_mov_b32_e32 v12, v0
	s_waitcnt lgkmcnt(0)
	s_abs_i32 s9, s19
	v_cvt_f32_u32_e32 v0, s9
	s_sub_i32 s10, 0, s9
	s_abs_i32 s8, s6
	s_xor_b32 s7, s6, s19
	v_rcp_iflag_f32_e32 v0, v0
	s_ashr_i32 s7, s7, 31
	v_mul_f32_e32 v0, 0x4f7ffffe, v0
	v_cvt_u32_f32_e32 v0, v0
	v_readfirstlane_b32 s11, v0
	s_mul_i32 s10, s10, s11
	s_mul_hi_u32 s10, s11, s10
	s_add_i32 s11, s11, s10
	s_mul_hi_u32 s10, s8, s11
	s_mul_i32 s11, s10, s9
	s_sub_i32 s8, s8, s11
	s_add_i32 s11, s10, 1
	s_sub_i32 s12, s8, s9
	s_cmp_ge_u32 s8, s9
	s_cselect_b32 s10, s11, s10
	s_cselect_b32 s8, s12, s8
	s_add_i32 s11, s10, 1
	s_cmp_ge_u32 s8, s9
	s_cselect_b32 s8, s11, s10
	s_xor_b32 s8, s8, s7
	s_sub_i32 s7, s8, s7
	s_mul_i32 s8, s7, s19
	s_sub_i32 s6, s6, s8
	s_mul_i32 s8, s18, s7
	s_lshl_b32 s8, s8, 6
	s_lshl_b32 s9, s6, 12
	s_add_i32 s9, s9, s8
	v_add_u32_e32 v10, s9, v12
	v_ashrrev_i32_e32 v11, 31, v10
	v_lshlrev_b64 v[2:3], 2, v[10:11]
	v_mov_b32_e32 v0, s1
	v_add_co_u32_e32 v2, vcc, s0, v2
	v_addc_co_u32_e32 v3, vcc, v0, v3, vcc
	global_load_dword v0, v[2:3], off
	s_abs_i32 s8, s16
	s_sub_i32 s9, 0, s8
	s_waitcnt vmcnt(0)
	buffer_store_dword v0, off, s[20:23], 0 offset:72 ; 4-byte Folded Spill
	global_load_dword v0, v[2:3], off offset:256
	s_waitcnt vmcnt(0)
	buffer_store_dword v0, off, s[20:23], 0 offset:80 ; 4-byte Folded Spill
	global_load_dword v0, v[2:3], off offset:512
	;; [unrolled: 3-line block ×7, first 2 shown]
	s_waitcnt vmcnt(0)
	buffer_store_dword v0, off, s[20:23], 0 ; 4-byte Folded Spill
	global_load_dword v0, v[2:3], off offset:2048
	s_waitcnt vmcnt(0)
	buffer_store_dword v0, off, s[20:23], 0 offset:96 ; 4-byte Folded Spill
	global_load_dword v0, v[2:3], off offset:2304
	s_waitcnt vmcnt(0)
	buffer_store_dword v0, off, s[20:23], 0 offset:108 ; 4-byte Folded Spill
	;; [unrolled: 3-line block ×7, first 2 shown]
	global_load_dword v0, v[2:3], off offset:3840
	v_mov_b32_e32 v2, s1
	s_waitcnt vmcnt(0)
	buffer_store_dword v0, off, s[20:23], 0 offset:12 ; 4-byte Folded Spill
	v_add_u32_e32 v0, 0x400, v10
	v_ashrrev_i32_e32 v1, 31, v0
	v_lshlrev_b64 v[0:1], 2, v[0:1]
	v_add_co_u32_e32 v0, vcc, s0, v0
	v_addc_co_u32_e32 v1, vcc, v2, v1, vcc
	global_load_dword v0, v[0:1], off
	s_waitcnt vmcnt(0)
	buffer_store_dword v0, off, s[20:23], 0 offset:116 ; 4-byte Folded Spill
	v_add_u32_e32 v0, 0x440, v10
	v_ashrrev_i32_e32 v1, 31, v0
	v_lshlrev_b64 v[0:1], 2, v[0:1]
	v_add_co_u32_e32 v0, vcc, s0, v0
	v_addc_co_u32_e32 v1, vcc, v2, v1, vcc
	global_load_dword v0, v[0:1], off
	;; [unrolled: 8-line block ×9, first 2 shown]
	v_add_u32_e32 v0, 0x640, v10
	v_ashrrev_i32_e32 v1, 31, v0
	v_lshlrev_b64 v[0:1], 2, v[0:1]
	v_add_co_u32_e32 v0, vcc, s0, v0
	v_addc_co_u32_e32 v1, vcc, v2, v1, vcc
	global_load_dword v28, v[0:1], off
	v_add_u32_e32 v0, 0x680, v10
	v_ashrrev_i32_e32 v1, 31, v0
	v_lshlrev_b64 v[0:1], 2, v[0:1]
	v_add_co_u32_e32 v0, vcc, s0, v0
	v_addc_co_u32_e32 v1, vcc, v2, v1, vcc
	global_load_dword v33, v[0:1], off
	;; [unrolled: 6-line block ×31, first 2 shown]
	s_waitcnt vmcnt(0)
	buffer_store_dword v0, off, s[20:23], 0 offset:48 ; 4-byte Folded Spill
	v_add_u32_e32 v0, 0xe00, v10
	v_ashrrev_i32_e32 v1, 31, v0
	v_lshlrev_b64 v[0:1], 2, v[0:1]
	v_add_co_u32_e32 v0, vcc, s0, v0
	v_addc_co_u32_e32 v1, vcc, v2, v1, vcc
	global_load_dword v55, v[0:1], off
	v_add_u32_e32 v0, 0xe40, v10
	v_ashrrev_i32_e32 v1, 31, v0
	v_lshlrev_b64 v[0:1], 2, v[0:1]
	v_add_co_u32_e32 v0, vcc, s0, v0
	v_addc_co_u32_e32 v1, vcc, v2, v1, vcc
	global_load_dword v13, v[0:1], off
	;; [unrolled: 6-line block ×3, first 2 shown]
	s_waitcnt vmcnt(0)
	buffer_store_dword v0, off, s[20:23], 0 offset:52 ; 4-byte Folded Spill
	v_add_u32_e32 v0, 0xec0, v10
	v_ashrrev_i32_e32 v1, 31, v0
	v_lshlrev_b64 v[0:1], 2, v[0:1]
	v_add_co_u32_e32 v0, vcc, s0, v0
	v_addc_co_u32_e32 v1, vcc, v2, v1, vcc
	global_load_dword v0, v[0:1], off
	s_waitcnt vmcnt(0)
	buffer_store_dword v0, off, s[20:23], 0 offset:68 ; 4-byte Folded Spill
	v_add_u32_e32 v0, 0xf00, v10
	v_ashrrev_i32_e32 v1, 31, v0
	v_lshlrev_b64 v[0:1], 2, v[0:1]
	v_add_co_u32_e32 v0, vcc, s0, v0
	v_addc_co_u32_e32 v1, vcc, v2, v1, vcc
	global_load_dword v0, v[0:1], off
	;; [unrolled: 8-line block ×4, first 2 shown]
	s_waitcnt vmcnt(0)
	buffer_store_dword v0, off, s[20:23], 0 offset:64 ; 4-byte Folded Spill
	v_add_u32_e32 v0, 0xfc0, v10
	v_ashrrev_i32_e32 v1, 31, v0
	v_lshlrev_b64 v[0:1], 2, v[0:1]
	v_add_co_u32_e32 v2, vcc, s0, v0
	v_mov_b32_e32 v0, s1
	v_addc_co_u32_e32 v3, vcc, v0, v1, vcc
	global_load_dword v3, v[2:3], off
	v_cvt_f32_u32_e32 v0, s8
	s_abs_i32 s1, s17
	s_xor_b32 s0, s17, s16
	s_ashr_i32 s0, s0, 31
	v_rcp_iflag_f32_e32 v0, v0
	v_mul_f32_e32 v0, 0x4f7ffffe, v0
	v_cvt_u32_f32_e32 v0, v0
	v_readfirstlane_b32 s10, v0
	s_mul_i32 s9, s9, s10
	s_mul_hi_u32 s9, s10, s9
	s_add_i32 s10, s10, s9
	s_mul_hi_u32 s9, s1, s10
	s_mul_i32 s10, s9, s8
	s_sub_i32 s1, s1, s10
	s_add_i32 s10, s9, 1
	s_sub_i32 s11, s1, s8
	s_cmp_ge_u32 s1, s8
	s_cselect_b32 s9, s10, s9
	s_cselect_b32 s1, s11, s1
	s_add_i32 s10, s9, 1
	s_cmp_ge_u32 s1, s8
	s_cselect_b32 s1, s10, s9
	s_xor_b32 s1, s1, s0
	s_sub_i32 s0, s1, s0
	s_mul_i32 s0, s0, s18
	s_mul_i32 s1, s0, s7
	v_lshl_add_u32 v0, s6, 6, v12
	s_add_i32 s7, s7, 1
	v_add_u32_e32 v1, s1, v0
	s_mul_i32 s0, s0, s7
	v_add_u32_e32 v11, s0, v0
	v_mov_b32_e32 v0, v1
	v_mov_b32_e32 v2, v11
	v_cmp_lt_i32_e32 vcc, v0, v11
	s_and_saveexec_b64 s[0:1], vcc
	s_cbranch_execz .LBB0_4
; %bb.1:
	buffer_store_dword v10, off, s[20:23], 0 offset:184 ; 4-byte Folded Spill
	s_nop 0
	buffer_store_dword v11, off, s[20:23], 0 offset:188 ; 4-byte Folded Spill
	s_load_dword s16, s[4:5], 0x10
	s_load_dwordx8 s[8:15], s[4:5], 0x18
	v_lshlrev_b32_e32 v1, 2, v12
	buffer_store_dword v1, off, s[20:23], 0 offset:176 ; 4-byte Folded Spill
	v_ashrrev_i32_e32 v1, 31, v0
	v_lshlrev_b64 v[10:11], 2, v[0:1]
	s_ashr_i32 s19, s18, 31
	s_lshl_b64 s[6:7], s[18:19], 2
	s_mov_b64 s[4:5], 0
	buffer_store_dword v13, off, s[20:23], 0 offset:128 ; 4-byte Folded Spill
	buffer_store_dword v2, off, s[20:23], 0 offset:180 ; 4-byte Folded Spill
.LBB0_2:                                ; =>This Inner Loop Header: Depth=1
	v_mov_b32_e32 v21, v11
	s_waitcnt vmcnt(5)
	buffer_store_dword v3, off, s[20:23], 0 offset:144 ; 4-byte Folded Spill
	buffer_store_dword v55, off, s[20:23], 0 offset:140 ; 4-byte Folded Spill
	;; [unrolled: 1-line block ×3, first 2 shown]
	s_nop 0
	buffer_store_dword v1, off, s[20:23], 0 offset:136 ; 4-byte Folded Spill
	v_mov_b32_e32 v20, v10
	s_waitcnt lgkmcnt(0)
	v_mov_b32_e32 v0, s9
	v_add_co_u32_e32 v10, vcc, s8, v20
	v_addc_co_u32_e32 v11, vcc, v0, v21, vcc
	v_mov_b32_e32 v0, s13
	v_add_co_u32_e32 v12, vcc, s12, v20
	v_addc_co_u32_e32 v13, vcc, v0, v21, vcc
	buffer_store_dword v20, off, s[20:23], 0 offset:40 ; 4-byte Folded Spill
	s_nop 0
	buffer_store_dword v21, off, s[20:23], 0 offset:44 ; 4-byte Folded Spill
	v_mov_b32_e32 v0, s15
	v_mov_b32_e32 v55, v42
	;; [unrolled: 1-line block ×18, first 2 shown]
	s_waitcnt vmcnt(0)
	s_barrier
	v_mov_b32_e32 v45, v22
	v_mov_b32_e32 v16, v29
	;; [unrolled: 1-line block ×12, first 2 shown]
	v_add_co_u32_e32 v14, vcc, s14, v20
	v_addc_co_u32_e32 v15, vcc, v0, v21, vcc
	global_load_dword v0, v[10:11], off
	s_nop 0
	global_load_dword v10, v[12:13], off
	global_load_dword v11, v[14:15], off
	buffer_load_dword v37, off, s[20:23], 0 offset:32 ; 4-byte Folded Reload
	buffer_load_dword v23, off, s[20:23], 0 offset:120 ; 4-byte Folded Reload
	;; [unrolled: 1-line block ×20, first 2 shown]
	v_mov_b32_e32 v14, v62
	s_waitcnt vmcnt(18)
	v_mov_b32_e32 v6, v23
	s_waitcnt vmcnt(0)
	ds_write_b32 v1, v0
	v_add_u32_e32 v0, 0x100, v1
	ds_write_b32 v0, v10
	v_add_u32_e32 v0, 0x200, v1
	ds_write_b32 v0, v11
	s_waitcnt lgkmcnt(0)
	s_barrier
	buffer_load_dword v0, off, s[20:23], 0  ; 4-byte Folded Reload
	v_mov_b32_e32 v1, 0
	ds_read_b128 v[10:13], v1 offset:512
	buffer_load_dword v19, off, s[20:23], 0 offset:52 ; 4-byte Folded Reload
	buffer_load_dword v15, off, s[20:23], 0 offset:68 ; 4-byte Folded Reload
	s_waitcnt lgkmcnt(0)
	v_mul_f32_e32 v59, v21, v10
	v_mul_f32_e32 v41, v41, v11
	;; [unrolled: 1-line block ×4, first 2 shown]
	ds_read_b128 v[10:13], v1 offset:528
	buffer_load_dword v20, off, s[20:23], 0 offset:48 ; 4-byte Folded Reload
	v_mov_b32_e32 v23, v41
	s_waitcnt lgkmcnt(0)
	v_mul_f32_e32 v29, v29, v10
	v_mul_f32_e32 v21, v4, v11
	;; [unrolled: 1-line block ×3, first 2 shown]
	s_waitcnt vmcnt(3)
	v_mul_f32_e32 v0, v0, v13
	buffer_store_dword v0, off, s[20:23], 0 ; 4-byte Folded Spill
	buffer_load_dword v0, off, s[20:23], 0 offset:4 ; 4-byte Folded Reload
	ds_read_b128 v[10:13], v1 offset:544
	s_waitcnt lgkmcnt(0)
	v_mul_f32_e32 v31, v31, v10
	v_mul_f32_e32 v26, v26, v11
	v_mul_f32_e32 v24, v24, v12
	v_mul_f32_e32 v36, v36, v13
	ds_read_b128 v[10:13], v1 offset:560
	s_waitcnt lgkmcnt(0)
	v_mul_f32_e32 v22, v22, v11
	s_waitcnt vmcnt(0)
	v_mul_f32_e32 v0, v0, v10
	buffer_store_dword v0, off, s[20:23], 0 offset:4 ; 4-byte Folded Spill
	buffer_load_dword v0, off, s[20:23], 0 offset:8 ; 4-byte Folded Reload
	s_waitcnt vmcnt(0)
	v_mul_f32_e32 v0, v0, v12
	buffer_store_dword v0, off, s[20:23], 0 offset:8 ; 4-byte Folded Spill
	buffer_load_dword v0, off, s[20:23], 0 offset:12 ; 4-byte Folded Reload
	;; [unrolled: 4-line block ×3, first 2 shown]
	ds_read_b128 v[10:13], v1 offset:576
	s_waitcnt lgkmcnt(0)
	v_mul_f32_e32 v35, v32, v10
	v_mul_f32_e32 v32, v33, v12
	s_waitcnt vmcnt(0)
	v_mul_f32_e32 v0, v0, v11
	buffer_store_dword v0, off, s[20:23], 0 offset:16 ; 4-byte Folded Spill
	buffer_load_dword v0, off, s[20:23], 0 offset:20 ; 4-byte Folded Reload
	s_waitcnt vmcnt(0)
	v_mul_f32_e32 v0, v0, v13
	ds_read_b128 v[10:13], v1 offset:592
	buffer_store_dword v0, off, s[20:23], 0 offset:20 ; 4-byte Folded Spill
	v_mov_b32_e32 v0, s11
	s_waitcnt lgkmcnt(0)
	v_mul_f32_e32 v25, v25, v10
	v_mul_f32_e32 v6, v6, v11
	;; [unrolled: 1-line block ×4, first 2 shown]
	ds_read_b128 v[10:13], v1 offset:608
	s_waitcnt lgkmcnt(0)
	v_mul_f32_e32 v40, v40, v10
	v_mul_f32_e32 v39, v39, v11
	;; [unrolled: 1-line block ×4, first 2 shown]
	ds_read_b128 v[10:13], v1 offset:624
	buffer_store_dword v40, off, s[20:23], 0 offset:72 ; 4-byte Folded Spill
	buffer_store_dword v42, off, s[20:23], 0 offset:76 ; 4-byte Folded Spill
	;; [unrolled: 1-line block ×3, first 2 shown]
	buffer_load_dword v17, off, s[20:23], 0 offset:56 ; 4-byte Folded Reload
	s_waitcnt lgkmcnt(0)
	v_mul_f32_e32 v44, v44, v10
	v_mul_f32_e32 v16, v16, v11
	;; [unrolled: 1-line block ×4, first 2 shown]
	ds_read_b128 v[10:13], v1 offset:640
	buffer_store_dword v44, off, s[20:23], 0 offset:84 ; 4-byte Folded Spill
	buffer_store_dword v16, off, s[20:23], 0 offset:88 ; 4-byte Folded Spill
	;; [unrolled: 1-line block ×4, first 2 shown]
	s_waitcnt lgkmcnt(0)
	v_mul_f32_e32 v4, v48, v10
	v_mul_f32_e32 v2, v2, v11
	;; [unrolled: 1-line block ×4, first 2 shown]
	ds_read_b128 v[10:13], v1 offset:656
	buffer_store_dword v49, off, s[20:23], 0 offset:100 ; 4-byte Folded Spill
	buffer_store_dword v50, off, s[20:23], 0 offset:104 ; 4-byte Folded Spill
	s_waitcnt lgkmcnt(0)
	v_mul_f32_e32 v51, v51, v10
	v_mul_f32_e32 v52, v52, v11
	v_mul_f32_e32 v53, v53, v12
	v_mul_f32_e32 v54, v54, v13
	ds_read_b128 v[10:13], v1 offset:672
	buffer_store_dword v54, off, s[20:23], 0 offset:120 ; 4-byte Folded Spill
	v_mov_b32_e32 v54, v28
	buffer_store_dword v51, off, s[20:23], 0 offset:108 ; 4-byte Folded Spill
	buffer_store_dword v52, off, s[20:23], 0 offset:112 ; 4-byte Folded Spill
	s_waitcnt lgkmcnt(0)
	v_mul_f32_e32 v30, v30, v10
	v_mul_f32_e32 v56, v56, v11
	v_mul_f32_e32 v57, v57, v12
	v_mul_f32_e32 v58, v58, v13
	ds_read_b128 v[10:13], v1 offset:688
	buffer_store_dword v57, off, s[20:23], 0 offset:152 ; 4-byte Folded Spill
	v_mov_b32_e32 v57, v61
	buffer_store_dword v58, off, s[20:23], 0 offset:156 ; 4-byte Folded Spill
	buffer_store_dword v56, off, s[20:23], 0 offset:148 ; 4-byte Folded Spill
	s_waitcnt lgkmcnt(0)
	v_mul_f32_e32 v62, v38, v10
	v_mul_f32_e32 v54, v54, v11
	v_mul_f32_e32 v57, v57, v12
	v_mul_f32_e32 v14, v14, v13
	ds_read_b128 v[10:13], v1 offset:704
	buffer_store_dword v14, off, s[20:23], 0 offset:160 ; 4-byte Folded Spill
	v_mov_b32_e32 v14, v7
	buffer_store_dword v53, off, s[20:23], 0 offset:116 ; 4-byte Folded Spill
	buffer_store_dword v30, off, s[20:23], 0 offset:124 ; 4-byte Folded Spill
	s_waitcnt lgkmcnt(0)
	v_mul_f32_e32 v5, v5, v11
	buffer_store_dword v5, off, s[20:23], 0 offset:164 ; 4-byte Folded Spill
	v_mov_b32_e32 v5, v18
	v_mul_f32_e32 v58, v63, v10
	v_mul_f32_e32 v5, v5, v12
	;; [unrolled: 1-line block ×3, first 2 shown]
	ds_read_b128 v[10:13], v1 offset:720
	buffer_load_dword v18, off, s[20:23], 0 offset:60 ; 4-byte Folded Reload
	buffer_load_dword v30, off, s[20:23], 0 offset:144 ; 4-byte Folded Reload
	;; [unrolled: 1-line block ×3, first 2 shown]
	s_waitcnt lgkmcnt(0)
	v_mul_f32_e32 v3, v3, v12
	buffer_store_dword v3, off, s[20:23], 0 offset:168 ; 4-byte Folded Spill
	buffer_load_dword v3, off, s[20:23], 0 offset:128 ; 4-byte Folded Reload
	v_mul_f32_e32 v56, v8, v10
	v_mul_f32_e32 v9, v9, v11
	;; [unrolled: 1-line block ×3, first 2 shown]
	ds_read_b128 v[10:13], v1 offset:736
	s_waitcnt lgkmcnt(0)
	v_mul_f32_e32 v55, v55, v10
	v_mul_f32_e32 v19, v19, v12
	;; [unrolled: 1-line block ×3, first 2 shown]
	s_waitcnt vmcnt(0)
	v_mul_f32_e32 v3, v3, v11
	ds_read_b128 v[10:13], v1 offset:752
	buffer_load_dword v7, off, s[20:23], 0 offset:40 ; 4-byte Folded Reload
	buffer_load_dword v8, off, s[20:23], 0 offset:44 ; 4-byte Folded Reload
	buffer_load_dword v28, off, s[20:23], 0 ; 4-byte Folded Reload
	buffer_load_dword v33, off, s[20:23], 0 offset:4 ; 4-byte Folded Reload
	buffer_load_dword v34, off, s[20:23], 0 offset:8 ; 4-byte Folded Reload
	;; [unrolled: 1-line block ×3, first 2 shown]
	s_waitcnt lgkmcnt(0)
	v_mul_f32_e32 v17, v17, v10
	v_mul_f32_e32 v18, v18, v11
	;; [unrolled: 1-line block ×4, first 2 shown]
	buffer_load_dword v38, off, s[20:23], 0 offset:156 ; 4-byte Folded Reload
	buffer_load_dword v41, off, s[20:23], 0 offset:108 ; 4-byte Folded Reload
	;; [unrolled: 1-line block ×4, first 2 shown]
	s_waitcnt vmcnt(9)
	v_add_co_u32_e32 v10, vcc, s10, v7
	s_waitcnt vmcnt(8)
	v_addc_co_u32_e32 v11, vcc, v0, v8, vcc
	global_load_dword v0, v[10:11], off
	buffer_load_dword v7, off, s[20:23], 0 offset:12 ; 4-byte Folded Reload
	ds_read_b128 v[10:13], v1
	s_waitcnt vmcnt(1) lgkmcnt(0)
	v_fmac_f32_e32 v59, v0, v10
	v_fmac_f32_e32 v23, v0, v11
	;; [unrolled: 1-line block ×4, first 2 shown]
	ds_read_b128 v[10:13], v1 offset:16
	v_mov_b32_e32 v51, v60
	buffer_load_dword v60, off, s[20:23], 0 offset:152 ; 4-byte Folded Reload
	v_mov_b32_e32 v53, v43
	buffer_load_dword v43, off, s[20:23], 0 offset:120 ; 4-byte Folded Reload
	s_waitcnt lgkmcnt(0)
	v_fmac_f32_e32 v29, v0, v10
	v_fmac_f32_e32 v27, v0, v12
	v_mov_b32_e32 v8, v29
	v_fmac_f32_e32 v21, v0, v11
	v_mov_b32_e32 v48, v27
	buffer_load_dword v29, off, s[20:23], 0 offset:84 ; 4-byte Folded Reload
	buffer_load_dword v27, off, s[20:23], 0 offset:96 ; 4-byte Folded Reload
	v_fmac_f32_e32 v28, v0, v13
	ds_read_b128 v[10:13], v1 offset:32
	v_mov_b32_e32 v50, v21
	buffer_load_dword v21, off, s[20:23], 0 offset:104 ; 4-byte Folded Reload
	v_mov_b32_e32 v52, v59
	buffer_load_dword v59, off, s[20:23], 0 offset:160 ; 4-byte Folded Reload
	s_waitcnt lgkmcnt(0)
	v_fmac_f32_e32 v31, v0, v10
	v_fmac_f32_e32 v26, v0, v11
	;; [unrolled: 1-line block ×4, first 2 shown]
	ds_read_b128 v[10:13], v1 offset:48
	v_mov_b32_e32 v42, v24
	v_mov_b32_e32 v44, v36
	buffer_load_dword v24, off, s[20:23], 0 offset:76 ; 4-byte Folded Reload
	buffer_load_dword v36, off, s[20:23], 0 offset:88 ; 4-byte Folded Reload
	s_waitcnt lgkmcnt(0)
	v_fmac_f32_e32 v33, v0, v10
	v_fmac_f32_e32 v22, v0, v11
	;; [unrolled: 1-line block ×3, first 2 shown]
	s_waitcnt vmcnt(8)
	v_fmac_f32_e32 v7, v0, v13
	ds_read_b128 v[10:13], v1 offset:64
	buffer_store_dword v22, off, s[20:23], 0 offset:24 ; 4-byte Folded Spill
	v_mov_b32_e32 v22, v35
	buffer_load_dword v35, off, s[20:23], 0 offset:16 ; 4-byte Folded Reload
	v_mov_b32_e32 v49, v31
	s_waitcnt lgkmcnt(0)
	v_fmac_f32_e32 v32, v0, v12
	buffer_store_dword v32, off, s[20:23], 0 offset:28 ; 4-byte Folded Spill
	buffer_load_dword v32, off, s[20:23], 0 offset:20 ; 4-byte Folded Reload
	v_fmac_f32_e32 v22, v0, v10
	v_mov_b32_e32 v46, v26
	buffer_load_dword v26, off, s[20:23], 0 offset:92 ; 4-byte Folded Reload
	s_waitcnt vmcnt(3)
	v_fmac_f32_e32 v35, v0, v11
	buffer_store_dword v8, off, s[20:23], 0 offset:88 ; 4-byte Folded Spill
	buffer_store_dword v7, off, s[20:23], 0 offset:12 ; 4-byte Folded Spill
	;; [unrolled: 1-line block ×3, first 2 shown]
	s_waitcnt vmcnt(4)
	v_fmac_f32_e32 v32, v0, v13
	ds_read_b128 v[10:13], v1 offset:80
	buffer_store_dword v53, off, s[20:23], 0 offset:84 ; 4-byte Folded Spill
	buffer_store_dword v48, off, s[20:23], 0 offset:92 ; 4-byte Folded Spill
	;; [unrolled: 1-line block ×4, first 2 shown]
	s_waitcnt lgkmcnt(0)
	v_fmac_f32_e32 v25, v0, v10
	v_fmac_f32_e32 v6, v0, v11
	v_mov_b32_e32 v31, v25
	v_mov_b32_e32 v40, v6
	buffer_load_dword v6, off, s[20:23], 0 offset:72 ; 4-byte Folded Reload
	buffer_load_dword v25, off, s[20:23], 0 offset:80 ; 4-byte Folded Reload
	v_fmac_f32_e32 v47, v0, v12
	v_fmac_f32_e32 v37, v0, v13
	ds_read_b128 v[10:13], v1 offset:96
	buffer_store_dword v47, off, s[20:23], 0 offset:36 ; 4-byte Folded Spill
	buffer_load_dword v47, off, s[20:23], 0 offset:112 ; 4-byte Folded Reload
	s_waitcnt lgkmcnt(0)
	v_fmac_f32_e32 v39, v0, v11
	v_fmac_f32_e32 v24, v0, v12
	buffer_store_dword v37, off, s[20:23], 0 offset:32 ; 4-byte Folded Spill
	buffer_store_dword v39, off, s[20:23], 0 offset:172 ; 4-byte Folded Spill
	;; [unrolled: 1-line block ×11, first 2 shown]
	s_waitcnt vmcnt(14)
	v_fmac_f32_e32 v6, v0, v10
	s_waitcnt vmcnt(13)
	v_fmac_f32_e32 v25, v0, v13
	ds_read_b128 v[10:13], v1 offset:112
	s_waitcnt lgkmcnt(0)
	v_fmac_f32_e32 v29, v0, v10
	v_fmac_f32_e32 v36, v0, v11
	v_fmac_f32_e32 v26, v0, v12
	v_fmac_f32_e32 v27, v0, v13
	ds_read_b128 v[10:13], v1 offset:128
	s_waitcnt lgkmcnt(0)
	v_fmac_f32_e32 v4, v0, v10
	buffer_store_dword v4, off, s[20:23], 0 offset:140 ; 4-byte Folded Spill
	buffer_load_dword v4, off, s[20:23], 0 offset:100 ; 4-byte Folded Reload
	v_fmac_f32_e32 v2, v0, v11
	v_fmac_f32_e32 v21, v0, v13
	buffer_store_dword v50, off, s[20:23], 0 offset:100 ; 4-byte Folded Spill
	s_waitcnt vmcnt(1)
	v_fmac_f32_e32 v4, v0, v12
	ds_read_b128 v[10:13], v1 offset:144
	s_waitcnt lgkmcnt(0)
	v_fmac_f32_e32 v41, v0, v10
	v_fmac_f32_e32 v47, v0, v11
	v_fmac_f32_e32 v45, v0, v12
	v_fmac_f32_e32 v43, v0, v13
	ds_read_b128 v[10:13], v1 offset:160
	s_waitcnt lgkmcnt(0)
	v_fmac_f32_e32 v63, v0, v10
	v_fmac_f32_e32 v61, v0, v11
	v_fmac_f32_e32 v60, v0, v12
	;; [unrolled: 6-line block ×3, first 2 shown]
	v_fmac_f32_e32 v59, v0, v13
	ds_read_b128 v[10:13], v1 offset:192
	s_waitcnt lgkmcnt(0)
	v_fmac_f32_e32 v58, v0, v10
	buffer_store_dword v58, off, s[20:23], 0 offset:144 ; 4-byte Folded Spill
	buffer_load_dword v58, off, s[20:23], 0 offset:164 ; 4-byte Folded Reload
	v_fmac_f32_e32 v5, v0, v12
	v_fmac_f32_e32 v14, v0, v13
	v_mov_b32_e32 v39, v14
	s_waitcnt vmcnt(0)
	v_fmac_f32_e32 v58, v0, v11
	ds_read_b128 v[10:13], v1 offset:208
	s_waitcnt lgkmcnt(0)
	v_fmac_f32_e32 v56, v0, v10
	v_mov_b32_e32 v37, v56
	buffer_load_dword v56, off, s[20:23], 0 offset:168 ; 4-byte Folded Reload
	v_fmac_f32_e32 v9, v0, v11
	v_fmac_f32_e32 v20, v0, v13
	buffer_store_dword v20, off, s[20:23], 0 offset:48 ; 4-byte Folded Spill
	s_waitcnt vmcnt(1)
	v_fmac_f32_e32 v56, v0, v12
	ds_read_b128 v[10:13], v1 offset:224
	s_waitcnt lgkmcnt(0)
	v_fmac_f32_e32 v55, v0, v10
	v_fmac_f32_e32 v3, v0, v11
	;; [unrolled: 1-line block ×4, first 2 shown]
	ds_read_b128 v[10:13], v1 offset:240
	buffer_store_dword v3, off, s[20:23], 0 offset:128 ; 4-byte Folded Spill
	buffer_store_dword v19, off, s[20:23], 0 offset:52 ; 4-byte Folded Spill
	;; [unrolled: 1-line block ×3, first 2 shown]
	s_waitcnt lgkmcnt(0)
	v_fmac_f32_e32 v17, v0, v10
	v_fmac_f32_e32 v18, v0, v11
	;; [unrolled: 1-line block ×4, first 2 shown]
	ds_read_b128 v[10:13], v1 offset:256
	buffer_store_dword v17, off, s[20:23], 0 offset:56 ; 4-byte Folded Spill
	buffer_store_dword v18, off, s[20:23], 0 offset:60 ; 4-byte Folded Spill
	;; [unrolled: 1-line block ×3, first 2 shown]
	s_waitcnt lgkmcnt(0)
	v_fma_f32 v0, v52, v10, 0
	v_mov_b32_e32 v10, v23
	v_fmac_f32_e32 v0, v10, v11
	v_fmac_f32_e32 v0, v51, v12
	buffer_store_dword v10, off, s[20:23], 0 offset:80 ; 4-byte Folded Spill
	v_fmac_f32_e32 v0, v53, v13
	ds_read_b128 v[10:13], v1 offset:272
	v_mov_b32_e32 v23, v6
	v_mov_b32_e32 v52, v47
	;; [unrolled: 1-line block ×3, first 2 shown]
	s_waitcnt lgkmcnt(0)
	v_fmac_f32_e32 v0, v8, v10
	v_fmac_f32_e32 v0, v50, v11
	;; [unrolled: 1-line block ×3, first 2 shown]
	v_mov_b32_e32 v8, v28
	buffer_store_dword v8, off, s[20:23], 0 ; 4-byte Folded Spill
	v_fmac_f32_e32 v0, v8, v13
	buffer_load_dword v8, off, s[20:23], 0 offset:24 ; 4-byte Folded Reload
	ds_read_b128 v[10:13], v1 offset:288
	s_waitcnt lgkmcnt(0)
	v_fmac_f32_e32 v0, v49, v10
	v_fmac_f32_e32 v0, v46, v11
	;; [unrolled: 1-line block ×4, first 2 shown]
	ds_read_b128 v[10:13], v1 offset:304
	v_mov_b32_e32 v42, v63
	v_mov_b32_e32 v44, v60
	v_mov_b32_e32 v46, v62
	s_waitcnt lgkmcnt(0)
	v_fmac_f32_e32 v0, v33, v10
	v_mov_b32_e32 v33, v24
	s_waitcnt vmcnt(0)
	v_fmac_f32_e32 v0, v8, v11
	v_fmac_f32_e32 v0, v34, v12
	;; [unrolled: 1-line block ×3, first 2 shown]
	buffer_load_dword v7, off, s[20:23], 0 offset:28 ; 4-byte Folded Reload
	ds_read_b128 v[10:13], v1 offset:320
	v_mov_b32_e32 v34, v29
	v_mov_b32_e32 v8, v9
	s_waitcnt lgkmcnt(0)
	v_fmac_f32_e32 v0, v22, v10
	v_mov_b32_e32 v10, v35
	v_fmac_f32_e32 v0, v10, v11
	buffer_store_dword v10, off, s[20:23], 0 offset:16 ; 4-byte Folded Spill
	v_mov_b32_e32 v35, v26
	v_mov_b32_e32 v22, v27
	s_waitcnt vmcnt(1)
	v_fmac_f32_e32 v0, v7, v12
	buffer_load_dword v7, off, s[20:23], 0 offset:36 ; 4-byte Folded Reload
	v_fmac_f32_e32 v0, v32, v13
	ds_read_b128 v[10:13], v1 offset:336
	v_mov_b32_e32 v32, v21
	s_waitcnt lgkmcnt(0)
	v_fmac_f32_e32 v0, v31, v10
	v_fmac_f32_e32 v0, v40, v11
	s_waitcnt vmcnt(0)
	v_fmac_f32_e32 v0, v7, v12
	buffer_load_dword v7, off, s[20:23], 0 offset:32 ; 4-byte Folded Reload
	s_waitcnt vmcnt(0)
	v_fmac_f32_e32 v0, v7, v13
	ds_read_b128 v[10:13], v1 offset:352
	s_waitcnt lgkmcnt(0)
	v_fmac_f32_e32 v0, v6, v10
	buffer_load_dword v10, off, s[20:23], 0 offset:172 ; 4-byte Folded Reload
	buffer_load_dword v6, off, s[20:23], 0 offset:140 ; 4-byte Folded Reload
	s_waitcnt vmcnt(1)
	v_fmac_f32_e32 v0, v10, v11
	v_mov_b32_e32 v28, v10
	v_fmac_f32_e32 v0, v24, v12
	v_mov_b32_e32 v10, v25
	v_fmac_f32_e32 v0, v10, v13
	ds_read_b128 v[10:13], v1 offset:368
	s_waitcnt vmcnt(0)
	v_mov_b32_e32 v31, v6
	v_mov_b32_e32 v24, v4
	s_waitcnt lgkmcnt(0)
	v_fmac_f32_e32 v0, v29, v10
	v_fmac_f32_e32 v0, v36, v11
	;; [unrolled: 1-line block ×4, first 2 shown]
	ds_read_b128 v[10:13], v1 offset:384
	v_mov_b32_e32 v26, v2
	v_mov_b32_e32 v29, v36
	;; [unrolled: 1-line block ×4, first 2 shown]
	s_waitcnt lgkmcnt(0)
	v_fmac_f32_e32 v0, v6, v10
	v_fmac_f32_e32 v0, v2, v11
	buffer_load_dword v2, off, s[20:23], 0 offset:144 ; 4-byte Folded Reload
	v_fmac_f32_e32 v0, v4, v12
	v_fmac_f32_e32 v0, v21, v13
	ds_read_b128 v[10:13], v1 offset:400
	v_mov_b32_e32 v4, v41
	v_mov_b32_e32 v6, v37
	s_waitcnt lgkmcnt(0)
	v_fmac_f32_e32 v0, v41, v10
	v_fmac_f32_e32 v0, v47, v11
	;; [unrolled: 1-line block ×4, first 2 shown]
	ds_read_b128 v[10:13], v1 offset:416
	v_mov_b32_e32 v41, v43
	v_mov_b32_e32 v45, v61
	v_mov_b32_e32 v47, v38
	s_waitcnt lgkmcnt(0)
	v_fmac_f32_e32 v0, v63, v10
	v_fmac_f32_e32 v0, v61, v11
	;; [unrolled: 1-line block ×4, first 2 shown]
	ds_read_b128 v[10:13], v1 offset:432
	v_mov_b32_e32 v60, v54
	v_mov_b32_e32 v61, v57
	s_waitcnt lgkmcnt(0)
	v_fmac_f32_e32 v0, v62, v10
	v_fmac_f32_e32 v0, v54, v11
	;; [unrolled: 1-line block ×4, first 2 shown]
	ds_read_b128 v[10:13], v1 offset:448
	v_mov_b32_e32 v62, v59
	s_waitcnt vmcnt(0) lgkmcnt(0)
	v_fmac_f32_e32 v0, v2, v10
	v_fmac_f32_e32 v0, v58, v11
	;; [unrolled: 1-line block ×4, first 2 shown]
	ds_read_b128 v[10:13], v1 offset:464
	v_mov_b32_e32 v63, v2
	v_mov_b32_e32 v5, v14
	s_waitcnt lgkmcnt(0)
	v_fmac_f32_e32 v0, v37, v10
	v_fmac_f32_e32 v0, v9, v11
	;; [unrolled: 1-line block ×4, first 2 shown]
	ds_read_b128 v[10:13], v1 offset:480
	v_mov_b32_e32 v9, v56
	s_waitcnt lgkmcnt(0)
	v_fmac_f32_e32 v0, v55, v10
	v_fmac_f32_e32 v0, v3, v11
	;; [unrolled: 1-line block ×4, first 2 shown]
	ds_read_b128 v[10:13], v1 offset:496
	buffer_load_dword v1, off, s[20:23], 0 offset:40 ; 4-byte Folded Reload
	buffer_load_dword v2, off, s[20:23], 0 offset:44 ; 4-byte Folded Reload
	v_mov_b32_e32 v3, v30
	s_waitcnt lgkmcnt(0)
	v_fmac_f32_e32 v0, v17, v10
	v_fmac_f32_e32 v0, v18, v11
	;; [unrolled: 1-line block ×4, first 2 shown]
	v_mov_b32_e32 v11, s3
	v_mul_f32_e32 v0, s16, v0
	s_waitcnt vmcnt(1)
	v_add_co_u32_e32 v10, vcc, s2, v1
	s_waitcnt vmcnt(0)
	v_addc_co_u32_e32 v11, vcc, v11, v2, vcc
	global_store_dword v[10:11], v0, off
	v_add_co_u32_e32 v1, vcc, s6, v1
	v_mov_b32_e32 v11, v2
	v_mov_b32_e32 v0, s7
	;; [unrolled: 1-line block ×3, first 2 shown]
	v_addc_co_u32_e32 v11, vcc, v11, v0, vcc
	buffer_load_dword v0, off, s[20:23], 0 offset:132 ; 4-byte Folded Reload
	buffer_load_dword v1, off, s[20:23], 0 offset:136 ; 4-byte Folded Reload
	;; [unrolled: 1-line block ×3, first 2 shown]
	s_waitcnt vmcnt(2)
	v_add_u32_e32 v0, s18, v0
	s_waitcnt vmcnt(0)
	v_cmp_ge_i32_e32 vcc, v0, v1
	s_or_b64 s[4:5], vcc, s[4:5]
	s_andn2_b64 exec, exec, s[4:5]
	s_cbranch_execnz .LBB0_2
; %bb.3:
	s_or_b64 exec, exec, s[4:5]
	buffer_load_dword v10, off, s[20:23], 0 offset:184 ; 4-byte Folded Reload
	buffer_load_dword v11, off, s[20:23], 0 offset:188 ; 4-byte Folded Reload
	;; [unrolled: 1-line block ×3, first 2 shown]
.LBB0_4:
	s_or_b64 exec, exec, s[0:1]
	s_mul_i32 s0, s18, s17
	s_waitcnt vmcnt(2)
	v_add_u32_e32 v0, s0, v10
	v_ashrrev_i32_e32 v1, 31, v0
	v_lshlrev_b64 v[1:2], 2, v[0:1]
	s_waitcnt vmcnt(0)
	v_mov_b32_e32 v12, v3
	v_mov_b32_e32 v3, s3
	v_add_co_u32_e32 v1, vcc, s2, v1
	v_addc_co_u32_e32 v2, vcc, v3, v2, vcc
	buffer_load_dword v3, off, s[20:23], 0 offset:72 ; 4-byte Folded Reload
	s_waitcnt vmcnt(0)
	global_store_dword v[1:2], v3, off
	buffer_load_dword v3, off, s[20:23], 0 offset:80 ; 4-byte Folded Reload
	s_waitcnt vmcnt(0)
	global_store_dword v[1:2], v3, off offset:256
	buffer_load_dword v3, off, s[20:23], 0 offset:76 ; 4-byte Folded Reload
	s_waitcnt vmcnt(0)
	global_store_dword v[1:2], v3, off offset:512
	;; [unrolled: 3-line block ×6, first 2 shown]
	buffer_load_dword v3, off, s[20:23], 0  ; 4-byte Folded Reload
	s_waitcnt vmcnt(0)
	global_store_dword v[1:2], v3, off offset:1792
	buffer_load_dword v3, off, s[20:23], 0 offset:96 ; 4-byte Folded Reload
	s_waitcnt vmcnt(0)
	global_store_dword v[1:2], v3, off offset:2048
	buffer_load_dword v3, off, s[20:23], 0 offset:108 ; 4-byte Folded Reload
	;; [unrolled: 3-line block ×8, first 2 shown]
	s_waitcnt vmcnt(0)
	global_store_dword v[1:2], v3, off offset:3840
	v_add_u32_e32 v1, 0x400, v0
	v_ashrrev_i32_e32 v2, 31, v1
	v_lshlrev_b64 v[1:2], 2, v[1:2]
	v_mov_b32_e32 v3, s3
	v_add_co_u32_e32 v1, vcc, s2, v1
	v_addc_co_u32_e32 v2, vcc, v3, v2, vcc
	buffer_load_dword v3, off, s[20:23], 0 offset:116 ; 4-byte Folded Reload
	s_waitcnt vmcnt(0)
	global_store_dword v[1:2], v3, off
	v_add_u32_e32 v1, 0x440, v0
	v_ashrrev_i32_e32 v2, 31, v1
	v_lshlrev_b64 v[1:2], 2, v[1:2]
	v_mov_b32_e32 v3, s3
	v_add_co_u32_e32 v1, vcc, s2, v1
	v_addc_co_u32_e32 v2, vcc, v3, v2, vcc
	buffer_load_dword v3, off, s[20:23], 0 offset:16 ; 4-byte Folded Reload
	s_waitcnt vmcnt(0)
	global_store_dword v[1:2], v3, off
	;; [unrolled: 9-line block ×8, first 2 shown]
	v_add_u32_e32 v1, 0x600, v0
	v_ashrrev_i32_e32 v2, 31, v1
	v_lshlrev_b64 v[1:2], 2, v[1:2]
	v_mov_b32_e32 v3, s3
	v_add_co_u32_e32 v1, vcc, s2, v1
	v_addc_co_u32_e32 v2, vcc, v3, v2, vcc
	global_store_dword v[1:2], v23, off
	v_add_u32_e32 v1, 0x640, v0
	v_ashrrev_i32_e32 v2, 31, v1
	v_lshlrev_b64 v[1:2], 2, v[1:2]
	v_add_co_u32_e32 v1, vcc, s2, v1
	v_addc_co_u32_e32 v2, vcc, v3, v2, vcc
	global_store_dword v[1:2], v28, off
	v_add_u32_e32 v1, 0x680, v0
	v_ashrrev_i32_e32 v2, 31, v1
	v_lshlrev_b64 v[1:2], 2, v[1:2]
	;; [unrolled: 6-line block ×31, first 2 shown]
	v_add_co_u32_e32 v1, vcc, s2, v1
	v_addc_co_u32_e32 v2, vcc, v3, v2, vcc
	buffer_load_dword v3, off, s[20:23], 0 offset:48 ; 4-byte Folded Reload
	s_waitcnt vmcnt(0)
	global_store_dword v[1:2], v3, off
	v_add_u32_e32 v1, 0xe00, v0
	v_ashrrev_i32_e32 v2, 31, v1
	v_lshlrev_b64 v[1:2], 2, v[1:2]
	v_mov_b32_e32 v3, s3
	v_add_co_u32_e32 v1, vcc, s2, v1
	v_addc_co_u32_e32 v2, vcc, v3, v2, vcc
	global_store_dword v[1:2], v55, off
	v_add_u32_e32 v1, 0xe40, v0
	v_ashrrev_i32_e32 v2, 31, v1
	v_lshlrev_b64 v[1:2], 2, v[1:2]
	v_add_co_u32_e32 v1, vcc, s2, v1
	v_addc_co_u32_e32 v2, vcc, v3, v2, vcc
	global_store_dword v[1:2], v13, off
	v_add_u32_e32 v1, 0xe80, v0
	v_ashrrev_i32_e32 v2, 31, v1
	v_lshlrev_b64 v[1:2], 2, v[1:2]
	v_add_co_u32_e32 v1, vcc, s2, v1
	v_addc_co_u32_e32 v2, vcc, v3, v2, vcc
	buffer_load_dword v3, off, s[20:23], 0 offset:52 ; 4-byte Folded Reload
	s_waitcnt vmcnt(0)
	global_store_dword v[1:2], v3, off
	v_add_u32_e32 v1, 0xec0, v0
	v_ashrrev_i32_e32 v2, 31, v1
	v_lshlrev_b64 v[1:2], 2, v[1:2]
	v_mov_b32_e32 v3, s3
	v_add_co_u32_e32 v1, vcc, s2, v1
	v_addc_co_u32_e32 v2, vcc, v3, v2, vcc
	buffer_load_dword v3, off, s[20:23], 0 offset:68 ; 4-byte Folded Reload
	s_waitcnt vmcnt(0)
	global_store_dword v[1:2], v3, off
	v_add_u32_e32 v1, 0xf00, v0
	v_ashrrev_i32_e32 v2, 31, v1
	v_lshlrev_b64 v[1:2], 2, v[1:2]
	v_mov_b32_e32 v3, s3
	;; [unrolled: 9-line block ×4, first 2 shown]
	v_add_co_u32_e32 v1, vcc, s2, v1
	v_addc_co_u32_e32 v2, vcc, v3, v2, vcc
	buffer_load_dword v3, off, s[20:23], 0 offset:64 ; 4-byte Folded Reload
	v_add_u32_e32 v0, 0xfc0, v0
	s_waitcnt vmcnt(0)
	global_store_dword v[1:2], v3, off
	v_ashrrev_i32_e32 v1, 31, v0
	v_lshlrev_b64 v[0:1], 2, v[0:1]
	v_mov_b32_e32 v2, s3
	v_add_co_u32_e32 v0, vcc, s2, v0
	v_addc_co_u32_e32 v1, vcc, v2, v1, vcc
	global_store_dword v[0:1], v12, off
	s_endpgm
	.section	.rodata,"a",@progbits
	.p2align	6, 0x0
	.amdhsa_kernel _ZL21gated_linear_attn_f32ILi64EEviiiifPKfS1_S1_S1_S1_Pf
		.amdhsa_group_segment_fixed_size 768
		.amdhsa_private_segment_fixed_size 196
		.amdhsa_kernarg_size 72
		.amdhsa_user_sgpr_count 6
		.amdhsa_user_sgpr_private_segment_buffer 1
		.amdhsa_user_sgpr_dispatch_ptr 0
		.amdhsa_user_sgpr_queue_ptr 0
		.amdhsa_user_sgpr_kernarg_segment_ptr 1
		.amdhsa_user_sgpr_dispatch_id 0
		.amdhsa_user_sgpr_flat_scratch_init 0
		.amdhsa_user_sgpr_private_segment_size 0
		.amdhsa_uses_dynamic_stack 0
		.amdhsa_system_sgpr_private_segment_wavefront_offset 1
		.amdhsa_system_sgpr_workgroup_id_x 1
		.amdhsa_system_sgpr_workgroup_id_y 0
		.amdhsa_system_sgpr_workgroup_id_z 0
		.amdhsa_system_sgpr_workgroup_info 0
		.amdhsa_system_vgpr_workitem_id 0
		.amdhsa_next_free_vgpr 64
		.amdhsa_next_free_sgpr 24
		.amdhsa_reserve_vcc 1
		.amdhsa_reserve_flat_scratch 0
		.amdhsa_float_round_mode_32 0
		.amdhsa_float_round_mode_16_64 0
		.amdhsa_float_denorm_mode_32 3
		.amdhsa_float_denorm_mode_16_64 3
		.amdhsa_dx10_clamp 1
		.amdhsa_ieee_mode 1
		.amdhsa_fp16_overflow 0
		.amdhsa_exception_fp_ieee_invalid_op 0
		.amdhsa_exception_fp_denorm_src 0
		.amdhsa_exception_fp_ieee_div_zero 0
		.amdhsa_exception_fp_ieee_overflow 0
		.amdhsa_exception_fp_ieee_underflow 0
		.amdhsa_exception_fp_ieee_inexact 0
		.amdhsa_exception_int_div_zero 0
	.end_amdhsa_kernel
	.section	.text._ZL21gated_linear_attn_f32ILi64EEviiiifPKfS1_S1_S1_S1_Pf,"axG",@progbits,_ZL21gated_linear_attn_f32ILi64EEviiiifPKfS1_S1_S1_S1_Pf,comdat
.Lfunc_end0:
	.size	_ZL21gated_linear_attn_f32ILi64EEviiiifPKfS1_S1_S1_S1_Pf, .Lfunc_end0-_ZL21gated_linear_attn_f32ILi64EEviiiifPKfS1_S1_S1_S1_Pf
                                        ; -- End function
	.set _ZL21gated_linear_attn_f32ILi64EEviiiifPKfS1_S1_S1_S1_Pf.num_vgpr, 64
	.set _ZL21gated_linear_attn_f32ILi64EEviiiifPKfS1_S1_S1_S1_Pf.num_agpr, 0
	.set _ZL21gated_linear_attn_f32ILi64EEviiiifPKfS1_S1_S1_S1_Pf.numbered_sgpr, 24
	.set _ZL21gated_linear_attn_f32ILi64EEviiiifPKfS1_S1_S1_S1_Pf.num_named_barrier, 0
	.set _ZL21gated_linear_attn_f32ILi64EEviiiifPKfS1_S1_S1_S1_Pf.private_seg_size, 196
	.set _ZL21gated_linear_attn_f32ILi64EEviiiifPKfS1_S1_S1_S1_Pf.uses_vcc, 1
	.set _ZL21gated_linear_attn_f32ILi64EEviiiifPKfS1_S1_S1_S1_Pf.uses_flat_scratch, 0
	.set _ZL21gated_linear_attn_f32ILi64EEviiiifPKfS1_S1_S1_S1_Pf.has_dyn_sized_stack, 0
	.set _ZL21gated_linear_attn_f32ILi64EEviiiifPKfS1_S1_S1_S1_Pf.has_recursion, 0
	.set _ZL21gated_linear_attn_f32ILi64EEviiiifPKfS1_S1_S1_S1_Pf.has_indirect_call, 0
	.section	.AMDGPU.csdata,"",@progbits
; Kernel info:
; codeLenInByte = 8188
; TotalNumSgprs: 28
; NumVgprs: 64
; ScratchSize: 196
; MemoryBound: 0
; FloatMode: 240
; IeeeMode: 1
; LDSByteSize: 768 bytes/workgroup (compile time only)
; SGPRBlocks: 3
; VGPRBlocks: 15
; NumSGPRsForWavesPerEU: 28
; NumVGPRsForWavesPerEU: 64
; Occupancy: 4
; WaveLimiterHint : 1
; COMPUTE_PGM_RSRC2:SCRATCH_EN: 1
; COMPUTE_PGM_RSRC2:USER_SGPR: 6
; COMPUTE_PGM_RSRC2:TRAP_HANDLER: 0
; COMPUTE_PGM_RSRC2:TGID_X_EN: 1
; COMPUTE_PGM_RSRC2:TGID_Y_EN: 0
; COMPUTE_PGM_RSRC2:TGID_Z_EN: 0
; COMPUTE_PGM_RSRC2:TIDIG_COMP_CNT: 0
	.section	.text._ZL21gated_linear_attn_f32ILi128EEviiiifPKfS1_S1_S1_S1_Pf,"axG",@progbits,_ZL21gated_linear_attn_f32ILi128EEviiiifPKfS1_S1_S1_S1_Pf,comdat
	.globl	_ZL21gated_linear_attn_f32ILi128EEviiiifPKfS1_S1_S1_S1_Pf ; -- Begin function _ZL21gated_linear_attn_f32ILi128EEviiiifPKfS1_S1_S1_S1_Pf
	.p2align	8
	.type	_ZL21gated_linear_attn_f32ILi128EEviiiifPKfS1_S1_S1_S1_Pf,@function
_ZL21gated_linear_attn_f32ILi128EEviiiifPKfS1_S1_S1_S1_Pf: ; @_ZL21gated_linear_attn_f32ILi128EEviiiifPKfS1_S1_S1_S1_Pf
; %bb.0:
	s_mov_b64 s[22:23], s[2:3]
	s_mov_b64 s[20:21], s[0:1]
	s_load_dwordx4 s[16:19], s[4:5], 0x0
	s_load_dwordx4 s[0:3], s[4:5], 0x38
	s_add_u32 s20, s20, s7
	s_addc_u32 s21, s21, 0
	v_mov_b32_e32 v4, v0
	s_waitcnt lgkmcnt(0)
	s_abs_i32 s9, s19
	v_cvt_f32_u32_e32 v0, s9
	s_sub_i32 s10, 0, s9
	s_abs_i32 s8, s6
	s_xor_b32 s7, s6, s19
	v_rcp_iflag_f32_e32 v0, v0
	s_ashr_i32 s7, s7, 31
	v_mul_f32_e32 v0, 0x4f7ffffe, v0
	v_cvt_u32_f32_e32 v0, v0
	v_readfirstlane_b32 s11, v0
	s_mul_i32 s10, s10, s11
	s_mul_hi_u32 s10, s11, s10
	s_add_i32 s11, s11, s10
	s_mul_hi_u32 s10, s8, s11
	s_mul_i32 s11, s10, s9
	s_sub_i32 s8, s8, s11
	s_add_i32 s11, s10, 1
	s_sub_i32 s12, s8, s9
	s_cmp_ge_u32 s8, s9
	s_cselect_b32 s10, s11, s10
	s_cselect_b32 s8, s12, s8
	s_add_i32 s11, s10, 1
	s_cmp_ge_u32 s8, s9
	s_cselect_b32 s8, s11, s10
	s_xor_b32 s8, s8, s7
	s_sub_i32 s7, s8, s7
	s_mul_i32 s8, s7, s19
	s_sub_i32 s6, s6, s8
	s_mul_i32 s8, s18, s7
	s_lshl_b32 s8, s8, 7
	s_lshl_b32 s9, s6, 14
	s_add_i32 s9, s9, s8
	v_add_u32_e32 v1, s9, v4
	v_ashrrev_i32_e32 v2, 31, v1
	v_lshlrev_b64 v[2:3], 2, v[1:2]
	v_mov_b32_e32 v0, s1
	v_add_co_u32_e32 v2, vcc, s0, v2
	v_addc_co_u32_e32 v3, vcc, v0, v3, vcc
	global_load_dword v0, v[2:3], off
	s_abs_i32 s8, s16
	s_sub_i32 s9, 0, s8
	s_waitcnt vmcnt(0)
	buffer_store_dword v0, off, s[20:23], 0 offset:316 ; 4-byte Folded Spill
	global_load_dword v0, v[2:3], off offset:512
	s_waitcnt vmcnt(0)
	buffer_store_dword v0, off, s[20:23], 0 offset:312 ; 4-byte Folded Spill
	global_load_dword v35, v[2:3], off offset:1024
	global_load_dword v33, v[2:3], off offset:1536
	;; [unrolled: 1-line block ×6, first 2 shown]
	v_add_u32_e32 v2, 0x400, v1
	v_ashrrev_i32_e32 v3, 31, v2
	v_lshlrev_b64 v[2:3], 2, v[2:3]
	v_mov_b32_e32 v0, s1
	v_add_co_u32_e32 v2, vcc, s0, v2
	v_addc_co_u32_e32 v3, vcc, v0, v3, vcc
	global_load_dword v0, v[2:3], off
	v_add_u32_e32 v2, 0x480, v1
	v_ashrrev_i32_e32 v3, 31, v2
	v_lshlrev_b64 v[2:3], 2, v[2:3]
	v_add_co_u32_e32 v2, vcc, s0, v2
	s_waitcnt vmcnt(0)
	buffer_store_dword v0, off, s[20:23], 0 offset:320 ; 4-byte Folded Spill
	v_mov_b32_e32 v0, s1
	v_addc_co_u32_e32 v3, vcc, v0, v3, vcc
	global_load_dword v0, v[2:3], off
	v_add_u32_e32 v2, 0x500, v1
	v_ashrrev_i32_e32 v3, 31, v2
	v_lshlrev_b64 v[2:3], 2, v[2:3]
	v_add_co_u32_e32 v2, vcc, s0, v2
	s_waitcnt vmcnt(0)
	buffer_store_dword v0, off, s[20:23], 0 offset:324 ; 4-byte Folded Spill
	v_mov_b32_e32 v0, s1
	;; [unrolled: 9-line block ×6, first 2 shown]
	v_addc_co_u32_e32 v3, vcc, v0, v3, vcc
	global_load_dword v0, v[2:3], off
	v_add_u32_e32 v2, 0x780, v1
	v_ashrrev_i32_e32 v3, 31, v2
	v_lshlrev_b64 v[2:3], 2, v[2:3]
	v_add_co_u32_e32 v2, vcc, s0, v2
	s_waitcnt vmcnt(0)
	buffer_store_dword v0, off, s[20:23], 0 ; 4-byte Folded Spill
	v_mov_b32_e32 v0, s1
	v_addc_co_u32_e32 v3, vcc, v0, v3, vcc
	global_load_dword v0, v[2:3], off
	v_add_u32_e32 v2, 0x800, v1
	v_ashrrev_i32_e32 v3, 31, v2
	v_lshlrev_b64 v[2:3], 2, v[2:3]
	v_add_co_u32_e32 v2, vcc, s0, v2
	s_waitcnt vmcnt(0)
	buffer_store_dword v0, off, s[20:23], 0 offset:4 ; 4-byte Folded Spill
	v_mov_b32_e32 v0, s1
	v_addc_co_u32_e32 v3, vcc, v0, v3, vcc
	global_load_dword v0, v[2:3], off
	v_add_u32_e32 v2, 0x880, v1
	v_ashrrev_i32_e32 v3, 31, v2
	v_lshlrev_b64 v[2:3], 2, v[2:3]
	v_add_co_u32_e32 v2, vcc, s0, v2
	s_waitcnt vmcnt(0)
	buffer_store_dword v0, off, s[20:23], 0 offset:8 ; 4-byte Folded Spill
	;; [unrolled: 9-line block ×10, first 2 shown]
	v_mov_b32_e32 v0, s1
	v_addc_co_u32_e32 v3, vcc, v0, v3, vcc
	global_load_dword v49, v[2:3], off
	v_add_u32_e32 v2, 0xd00, v1
	v_ashrrev_i32_e32 v3, 31, v2
	v_lshlrev_b64 v[2:3], 2, v[2:3]
	v_add_co_u32_e32 v2, vcc, s0, v2
	v_addc_co_u32_e32 v3, vcc, v0, v3, vcc
	global_load_dword v50, v[2:3], off
	v_add_u32_e32 v2, 0xd80, v1
	v_ashrrev_i32_e32 v3, 31, v2
	v_lshlrev_b64 v[2:3], 2, v[2:3]
	v_add_co_u32_e32 v2, vcc, s0, v2
	;; [unrolled: 6-line block ×29, first 2 shown]
	s_waitcnt vmcnt(0)
	buffer_store_dword v0, off, s[20:23], 0 offset:36 ; 4-byte Folded Spill
	v_mov_b32_e32 v0, s1
	v_addc_co_u32_e32 v3, vcc, v0, v3, vcc
	global_load_dword v20, v[2:3], off
	v_add_u32_e32 v2, 0x1b80, v1
	v_ashrrev_i32_e32 v3, 31, v2
	v_lshlrev_b64 v[2:3], 2, v[2:3]
	v_add_co_u32_e32 v2, vcc, s0, v2
	v_addc_co_u32_e32 v3, vcc, v0, v3, vcc
	global_load_dword v0, v[2:3], off
	v_add_u32_e32 v2, 0x1c00, v1
	v_ashrrev_i32_e32 v3, 31, v2
	v_lshlrev_b64 v[2:3], 2, v[2:3]
	v_add_co_u32_e32 v2, vcc, s0, v2
	s_waitcnt vmcnt(0)
	buffer_store_dword v0, off, s[20:23], 0 offset:40 ; 4-byte Folded Spill
	v_mov_b32_e32 v0, s1
	v_addc_co_u32_e32 v3, vcc, v0, v3, vcc
	global_load_dword v25, v[2:3], off
	v_add_u32_e32 v2, 0x1c80, v1
	v_ashrrev_i32_e32 v3, 31, v2
	v_lshlrev_b64 v[2:3], 2, v[2:3]
	v_add_co_u32_e32 v2, vcc, s0, v2
	v_addc_co_u32_e32 v3, vcc, v0, v3, vcc
	global_load_dword v26, v[2:3], off
	v_add_u32_e32 v2, 0x1d00, v1
	v_ashrrev_i32_e32 v3, 31, v2
	v_lshlrev_b64 v[2:3], 2, v[2:3]
	v_add_co_u32_e32 v2, vcc, s0, v2
	;; [unrolled: 6-line block ×6, first 2 shown]
	s_waitcnt vmcnt(0)
	buffer_store_dword v0, off, s[20:23], 0 offset:44 ; 4-byte Folded Spill
	v_mov_b32_e32 v0, s1
	v_addc_co_u32_e32 v3, vcc, v0, v3, vcc
	global_load_dword v0, v[2:3], off
	v_add_u32_e32 v2, 0x1f80, v1
	v_ashrrev_i32_e32 v3, 31, v2
	v_lshlrev_b64 v[2:3], 2, v[2:3]
	v_add_co_u32_e32 v2, vcc, s0, v2
	s_waitcnt vmcnt(0)
	buffer_store_dword v0, off, s[20:23], 0 offset:48 ; 4-byte Folded Spill
	v_mov_b32_e32 v0, s1
	v_addc_co_u32_e32 v3, vcc, v0, v3, vcc
	global_load_dword v0, v[2:3], off
	v_add_u32_e32 v2, 0x2000, v1
	v_ashrrev_i32_e32 v3, 31, v2
	v_lshlrev_b64 v[2:3], 2, v[2:3]
	v_add_co_u32_e32 v2, vcc, s0, v2
	s_waitcnt vmcnt(0)
	buffer_store_dword v0, off, s[20:23], 0 offset:52 ; 4-byte Folded Spill
	v_mov_b32_e32 v0, s1
	v_addc_co_u32_e32 v3, vcc, v0, v3, vcc
	global_load_dword v0, v[2:3], off
	v_add_u32_e32 v2, 0x2080, v1
	v_ashrrev_i32_e32 v3, 31, v2
	v_lshlrev_b64 v[2:3], 2, v[2:3]
	v_add_co_u32_e32 v2, vcc, s0, v2
	s_waitcnt vmcnt(0)
	buffer_store_dword v0, off, s[20:23], 0 offset:280 ; 4-byte Folded Spill
	v_mov_b32_e32 v0, s1
	v_addc_co_u32_e32 v3, vcc, v0, v3, vcc
	global_load_dword v0, v[2:3], off
	v_add_u32_e32 v2, 0x2100, v1
	v_ashrrev_i32_e32 v3, 31, v2
	v_lshlrev_b64 v[2:3], 2, v[2:3]
	v_add_co_u32_e32 v2, vcc, s0, v2
	s_waitcnt vmcnt(0)
	buffer_store_dword v0, off, s[20:23], 0 offset:56 ; 4-byte Folded Spill
	v_mov_b32_e32 v0, s1
	v_addc_co_u32_e32 v3, vcc, v0, v3, vcc
	global_load_dword v0, v[2:3], off
	v_add_u32_e32 v2, 0x2180, v1
	v_ashrrev_i32_e32 v3, 31, v2
	v_lshlrev_b64 v[2:3], 2, v[2:3]
	v_add_co_u32_e32 v2, vcc, s0, v2
	s_waitcnt vmcnt(0)
	buffer_store_dword v0, off, s[20:23], 0 offset:60 ; 4-byte Folded Spill
	v_mov_b32_e32 v0, s1
	v_addc_co_u32_e32 v3, vcc, v0, v3, vcc
	global_load_dword v0, v[2:3], off
	v_add_u32_e32 v2, 0x2200, v1
	v_ashrrev_i32_e32 v3, 31, v2
	v_lshlrev_b64 v[2:3], 2, v[2:3]
	v_add_co_u32_e32 v2, vcc, s0, v2
	s_waitcnt vmcnt(0)
	buffer_store_dword v0, off, s[20:23], 0 offset:64 ; 4-byte Folded Spill
	v_mov_b32_e32 v0, s1
	v_addc_co_u32_e32 v3, vcc, v0, v3, vcc
	global_load_dword v0, v[2:3], off
	v_add_u32_e32 v2, 0x2280, v1
	v_ashrrev_i32_e32 v3, 31, v2
	v_lshlrev_b64 v[2:3], 2, v[2:3]
	v_add_co_u32_e32 v2, vcc, s0, v2
	s_waitcnt vmcnt(0)
	buffer_store_dword v0, off, s[20:23], 0 offset:68 ; 4-byte Folded Spill
	v_mov_b32_e32 v0, s1
	v_addc_co_u32_e32 v3, vcc, v0, v3, vcc
	global_load_dword v0, v[2:3], off
	v_add_u32_e32 v2, 0x2300, v1
	v_ashrrev_i32_e32 v3, 31, v2
	v_lshlrev_b64 v[2:3], 2, v[2:3]
	v_add_co_u32_e32 v2, vcc, s0, v2
	s_waitcnt vmcnt(0)
	buffer_store_dword v0, off, s[20:23], 0 offset:72 ; 4-byte Folded Spill
	v_mov_b32_e32 v0, s1
	v_addc_co_u32_e32 v3, vcc, v0, v3, vcc
	global_load_dword v0, v[2:3], off
	v_add_u32_e32 v2, 0x2380, v1
	v_ashrrev_i32_e32 v3, 31, v2
	v_lshlrev_b64 v[2:3], 2, v[2:3]
	v_add_co_u32_e32 v2, vcc, s0, v2
	s_waitcnt vmcnt(0)
	buffer_store_dword v0, off, s[20:23], 0 offset:76 ; 4-byte Folded Spill
	v_mov_b32_e32 v0, s1
	v_addc_co_u32_e32 v3, vcc, v0, v3, vcc
	global_load_dword v0, v[2:3], off
	v_add_u32_e32 v2, 0x2400, v1
	v_ashrrev_i32_e32 v3, 31, v2
	v_lshlrev_b64 v[2:3], 2, v[2:3]
	v_add_co_u32_e32 v2, vcc, s0, v2
	s_waitcnt vmcnt(0)
	buffer_store_dword v0, off, s[20:23], 0 offset:80 ; 4-byte Folded Spill
	v_mov_b32_e32 v0, s1
	v_addc_co_u32_e32 v3, vcc, v0, v3, vcc
	global_load_dword v0, v[2:3], off
	v_add_u32_e32 v2, 0x2480, v1
	v_ashrrev_i32_e32 v3, 31, v2
	v_lshlrev_b64 v[2:3], 2, v[2:3]
	v_add_co_u32_e32 v2, vcc, s0, v2
	s_waitcnt vmcnt(0)
	buffer_store_dword v0, off, s[20:23], 0 offset:284 ; 4-byte Folded Spill
	v_mov_b32_e32 v0, s1
	v_addc_co_u32_e32 v3, vcc, v0, v3, vcc
	global_load_dword v0, v[2:3], off
	v_add_u32_e32 v2, 0x2500, v1
	v_ashrrev_i32_e32 v3, 31, v2
	v_lshlrev_b64 v[2:3], 2, v[2:3]
	v_add_co_u32_e32 v2, vcc, s0, v2
	s_waitcnt vmcnt(0)
	buffer_store_dword v0, off, s[20:23], 0 offset:84 ; 4-byte Folded Spill
	v_mov_b32_e32 v0, s1
	v_addc_co_u32_e32 v3, vcc, v0, v3, vcc
	global_load_dword v0, v[2:3], off
	v_add_u32_e32 v2, 0x2580, v1
	v_ashrrev_i32_e32 v3, 31, v2
	v_lshlrev_b64 v[2:3], 2, v[2:3]
	v_add_co_u32_e32 v2, vcc, s0, v2
	s_waitcnt vmcnt(0)
	buffer_store_dword v0, off, s[20:23], 0 offset:88 ; 4-byte Folded Spill
	v_mov_b32_e32 v0, s1
	v_addc_co_u32_e32 v3, vcc, v0, v3, vcc
	global_load_dword v0, v[2:3], off
	v_add_u32_e32 v2, 0x2600, v1
	v_ashrrev_i32_e32 v3, 31, v2
	v_lshlrev_b64 v[2:3], 2, v[2:3]
	v_add_co_u32_e32 v2, vcc, s0, v2
	s_waitcnt vmcnt(0)
	buffer_store_dword v0, off, s[20:23], 0 offset:92 ; 4-byte Folded Spill
	v_mov_b32_e32 v0, s1
	v_addc_co_u32_e32 v3, vcc, v0, v3, vcc
	global_load_dword v0, v[2:3], off
	v_add_u32_e32 v2, 0x2680, v1
	v_ashrrev_i32_e32 v3, 31, v2
	v_lshlrev_b64 v[2:3], 2, v[2:3]
	v_add_co_u32_e32 v2, vcc, s0, v2
	s_waitcnt vmcnt(0)
	buffer_store_dword v0, off, s[20:23], 0 offset:96 ; 4-byte Folded Spill
	v_mov_b32_e32 v0, s1
	v_addc_co_u32_e32 v3, vcc, v0, v3, vcc
	global_load_dword v0, v[2:3], off
	v_add_u32_e32 v2, 0x2700, v1
	v_ashrrev_i32_e32 v3, 31, v2
	v_lshlrev_b64 v[2:3], 2, v[2:3]
	v_add_co_u32_e32 v2, vcc, s0, v2
	s_waitcnt vmcnt(0)
	buffer_store_dword v0, off, s[20:23], 0 offset:100 ; 4-byte Folded Spill
	v_mov_b32_e32 v0, s1
	v_addc_co_u32_e32 v3, vcc, v0, v3, vcc
	global_load_dword v0, v[2:3], off
	v_add_u32_e32 v2, 0x2780, v1
	v_ashrrev_i32_e32 v3, 31, v2
	v_lshlrev_b64 v[2:3], 2, v[2:3]
	v_add_co_u32_e32 v2, vcc, s0, v2
	s_waitcnt vmcnt(0)
	buffer_store_dword v0, off, s[20:23], 0 offset:104 ; 4-byte Folded Spill
	v_mov_b32_e32 v0, s1
	v_addc_co_u32_e32 v3, vcc, v0, v3, vcc
	global_load_dword v0, v[2:3], off
	v_add_u32_e32 v2, 0x2800, v1
	v_ashrrev_i32_e32 v3, 31, v2
	v_lshlrev_b64 v[2:3], 2, v[2:3]
	v_add_co_u32_e32 v2, vcc, s0, v2
	s_waitcnt vmcnt(0)
	buffer_store_dword v0, off, s[20:23], 0 offset:108 ; 4-byte Folded Spill
	v_mov_b32_e32 v0, s1
	v_addc_co_u32_e32 v3, vcc, v0, v3, vcc
	global_load_dword v0, v[2:3], off
	v_add_u32_e32 v2, 0x2880, v1
	v_ashrrev_i32_e32 v3, 31, v2
	v_lshlrev_b64 v[2:3], 2, v[2:3]
	v_add_co_u32_e32 v2, vcc, s0, v2
	s_waitcnt vmcnt(0)
	buffer_store_dword v0, off, s[20:23], 0 offset:288 ; 4-byte Folded Spill
	v_mov_b32_e32 v0, s1
	v_addc_co_u32_e32 v3, vcc, v0, v3, vcc
	global_load_dword v0, v[2:3], off
	v_add_u32_e32 v2, 0x2900, v1
	v_ashrrev_i32_e32 v3, 31, v2
	v_lshlrev_b64 v[2:3], 2, v[2:3]
	v_add_co_u32_e32 v2, vcc, s0, v2
	s_waitcnt vmcnt(0)
	buffer_store_dword v0, off, s[20:23], 0 offset:112 ; 4-byte Folded Spill
	v_mov_b32_e32 v0, s1
	v_addc_co_u32_e32 v3, vcc, v0, v3, vcc
	global_load_dword v0, v[2:3], off
	v_add_u32_e32 v2, 0x2980, v1
	v_ashrrev_i32_e32 v3, 31, v2
	v_lshlrev_b64 v[2:3], 2, v[2:3]
	v_add_co_u32_e32 v2, vcc, s0, v2
	s_waitcnt vmcnt(0)
	buffer_store_dword v0, off, s[20:23], 0 offset:116 ; 4-byte Folded Spill
	v_mov_b32_e32 v0, s1
	v_addc_co_u32_e32 v3, vcc, v0, v3, vcc
	global_load_dword v0, v[2:3], off
	v_add_u32_e32 v2, 0x2a00, v1
	v_ashrrev_i32_e32 v3, 31, v2
	v_lshlrev_b64 v[2:3], 2, v[2:3]
	v_add_co_u32_e32 v2, vcc, s0, v2
	s_waitcnt vmcnt(0)
	buffer_store_dword v0, off, s[20:23], 0 offset:120 ; 4-byte Folded Spill
	v_mov_b32_e32 v0, s1
	v_addc_co_u32_e32 v3, vcc, v0, v3, vcc
	global_load_dword v0, v[2:3], off
	v_add_u32_e32 v2, 0x2a80, v1
	v_ashrrev_i32_e32 v3, 31, v2
	v_lshlrev_b64 v[2:3], 2, v[2:3]
	v_add_co_u32_e32 v2, vcc, s0, v2
	s_waitcnt vmcnt(0)
	buffer_store_dword v0, off, s[20:23], 0 offset:124 ; 4-byte Folded Spill
	v_mov_b32_e32 v0, s1
	v_addc_co_u32_e32 v3, vcc, v0, v3, vcc
	global_load_dword v0, v[2:3], off
	v_add_u32_e32 v2, 0x2b00, v1
	v_ashrrev_i32_e32 v3, 31, v2
	v_lshlrev_b64 v[2:3], 2, v[2:3]
	v_add_co_u32_e32 v2, vcc, s0, v2
	s_waitcnt vmcnt(0)
	buffer_store_dword v0, off, s[20:23], 0 offset:128 ; 4-byte Folded Spill
	v_mov_b32_e32 v0, s1
	v_addc_co_u32_e32 v3, vcc, v0, v3, vcc
	global_load_dword v0, v[2:3], off
	v_add_u32_e32 v2, 0x2b80, v1
	v_ashrrev_i32_e32 v3, 31, v2
	v_lshlrev_b64 v[2:3], 2, v[2:3]
	v_add_co_u32_e32 v2, vcc, s0, v2
	s_waitcnt vmcnt(0)
	buffer_store_dword v0, off, s[20:23], 0 offset:132 ; 4-byte Folded Spill
	v_mov_b32_e32 v0, s1
	v_addc_co_u32_e32 v3, vcc, v0, v3, vcc
	global_load_dword v0, v[2:3], off
	v_add_u32_e32 v2, 0x2c00, v1
	v_ashrrev_i32_e32 v3, 31, v2
	v_lshlrev_b64 v[2:3], 2, v[2:3]
	v_add_co_u32_e32 v2, vcc, s0, v2
	s_waitcnt vmcnt(0)
	buffer_store_dword v0, off, s[20:23], 0 offset:136 ; 4-byte Folded Spill
	v_mov_b32_e32 v0, s1
	v_addc_co_u32_e32 v3, vcc, v0, v3, vcc
	global_load_dword v0, v[2:3], off
	v_add_u32_e32 v2, 0x2c80, v1
	v_ashrrev_i32_e32 v3, 31, v2
	v_lshlrev_b64 v[2:3], 2, v[2:3]
	v_add_co_u32_e32 v2, vcc, s0, v2
	s_waitcnt vmcnt(0)
	buffer_store_dword v0, off, s[20:23], 0 offset:292 ; 4-byte Folded Spill
	v_mov_b32_e32 v0, s1
	v_addc_co_u32_e32 v3, vcc, v0, v3, vcc
	global_load_dword v0, v[2:3], off
	v_add_u32_e32 v2, 0x2d00, v1
	v_ashrrev_i32_e32 v3, 31, v2
	v_lshlrev_b64 v[2:3], 2, v[2:3]
	v_add_co_u32_e32 v2, vcc, s0, v2
	s_waitcnt vmcnt(0)
	buffer_store_dword v0, off, s[20:23], 0 offset:140 ; 4-byte Folded Spill
	v_mov_b32_e32 v0, s1
	v_addc_co_u32_e32 v3, vcc, v0, v3, vcc
	global_load_dword v0, v[2:3], off
	v_add_u32_e32 v2, 0x2d80, v1
	v_ashrrev_i32_e32 v3, 31, v2
	v_lshlrev_b64 v[2:3], 2, v[2:3]
	v_add_co_u32_e32 v2, vcc, s0, v2
	s_waitcnt vmcnt(0)
	buffer_store_dword v0, off, s[20:23], 0 offset:144 ; 4-byte Folded Spill
	v_mov_b32_e32 v0, s1
	v_addc_co_u32_e32 v3, vcc, v0, v3, vcc
	global_load_dword v0, v[2:3], off
	v_add_u32_e32 v2, 0x2e00, v1
	v_ashrrev_i32_e32 v3, 31, v2
	v_lshlrev_b64 v[2:3], 2, v[2:3]
	v_add_co_u32_e32 v2, vcc, s0, v2
	s_waitcnt vmcnt(0)
	buffer_store_dword v0, off, s[20:23], 0 offset:148 ; 4-byte Folded Spill
	v_mov_b32_e32 v0, s1
	v_addc_co_u32_e32 v3, vcc, v0, v3, vcc
	global_load_dword v0, v[2:3], off
	v_add_u32_e32 v2, 0x2e80, v1
	v_ashrrev_i32_e32 v3, 31, v2
	v_lshlrev_b64 v[2:3], 2, v[2:3]
	v_add_co_u32_e32 v2, vcc, s0, v2
	s_waitcnt vmcnt(0)
	buffer_store_dword v0, off, s[20:23], 0 offset:152 ; 4-byte Folded Spill
	v_mov_b32_e32 v0, s1
	v_addc_co_u32_e32 v3, vcc, v0, v3, vcc
	global_load_dword v0, v[2:3], off
	v_add_u32_e32 v2, 0x2f00, v1
	v_ashrrev_i32_e32 v3, 31, v2
	v_lshlrev_b64 v[2:3], 2, v[2:3]
	v_add_co_u32_e32 v2, vcc, s0, v2
	s_waitcnt vmcnt(0)
	buffer_store_dword v0, off, s[20:23], 0 offset:156 ; 4-byte Folded Spill
	v_mov_b32_e32 v0, s1
	v_addc_co_u32_e32 v3, vcc, v0, v3, vcc
	global_load_dword v0, v[2:3], off
	v_add_u32_e32 v2, 0x2f80, v1
	v_ashrrev_i32_e32 v3, 31, v2
	v_lshlrev_b64 v[2:3], 2, v[2:3]
	v_add_co_u32_e32 v2, vcc, s0, v2
	s_waitcnt vmcnt(0)
	buffer_store_dword v0, off, s[20:23], 0 offset:160 ; 4-byte Folded Spill
	v_mov_b32_e32 v0, s1
	v_addc_co_u32_e32 v3, vcc, v0, v3, vcc
	global_load_dword v0, v[2:3], off
	v_add_u32_e32 v2, 0x3000, v1
	v_ashrrev_i32_e32 v3, 31, v2
	v_lshlrev_b64 v[2:3], 2, v[2:3]
	v_add_co_u32_e32 v2, vcc, s0, v2
	s_waitcnt vmcnt(0)
	buffer_store_dword v0, off, s[20:23], 0 offset:164 ; 4-byte Folded Spill
	v_mov_b32_e32 v0, s1
	v_addc_co_u32_e32 v3, vcc, v0, v3, vcc
	global_load_dword v0, v[2:3], off
	v_add_u32_e32 v2, 0x3080, v1
	v_ashrrev_i32_e32 v3, 31, v2
	v_lshlrev_b64 v[2:3], 2, v[2:3]
	v_add_co_u32_e32 v2, vcc, s0, v2
	s_waitcnt vmcnt(0)
	buffer_store_dword v0, off, s[20:23], 0 offset:348 ; 4-byte Folded Spill
	v_mov_b32_e32 v0, s1
	v_addc_co_u32_e32 v3, vcc, v0, v3, vcc
	global_load_dword v0, v[2:3], off
	v_add_u32_e32 v2, 0x3100, v1
	v_ashrrev_i32_e32 v3, 31, v2
	v_lshlrev_b64 v[2:3], 2, v[2:3]
	v_add_co_u32_e32 v2, vcc, s0, v2
	s_waitcnt vmcnt(0)
	buffer_store_dword v0, off, s[20:23], 0 offset:296 ; 4-byte Folded Spill
	v_mov_b32_e32 v0, s1
	v_addc_co_u32_e32 v3, vcc, v0, v3, vcc
	global_load_dword v0, v[2:3], off
	v_add_u32_e32 v2, 0x3180, v1
	v_ashrrev_i32_e32 v3, 31, v2
	v_lshlrev_b64 v[2:3], 2, v[2:3]
	v_add_co_u32_e32 v2, vcc, s0, v2
	s_waitcnt vmcnt(0)
	buffer_store_dword v0, off, s[20:23], 0 offset:352 ; 4-byte Folded Spill
	v_mov_b32_e32 v0, s1
	v_addc_co_u32_e32 v3, vcc, v0, v3, vcc
	global_load_dword v0, v[2:3], off
	v_add_u32_e32 v2, 0x3200, v1
	v_ashrrev_i32_e32 v3, 31, v2
	v_lshlrev_b64 v[2:3], 2, v[2:3]
	v_add_co_u32_e32 v2, vcc, s0, v2
	s_waitcnt vmcnt(0)
	buffer_store_dword v0, off, s[20:23], 0 offset:356 ; 4-byte Folded Spill
	v_mov_b32_e32 v0, s1
	v_addc_co_u32_e32 v3, vcc, v0, v3, vcc
	global_load_dword v0, v[2:3], off
	v_add_u32_e32 v2, 0x3280, v1
	v_ashrrev_i32_e32 v3, 31, v2
	v_lshlrev_b64 v[2:3], 2, v[2:3]
	v_add_co_u32_e32 v2, vcc, s0, v2
	s_waitcnt vmcnt(0)
	buffer_store_dword v0, off, s[20:23], 0 offset:360 ; 4-byte Folded Spill
	v_mov_b32_e32 v0, s1
	v_addc_co_u32_e32 v3, vcc, v0, v3, vcc
	global_load_dword v0, v[2:3], off
	v_add_u32_e32 v2, 0x3300, v1
	v_ashrrev_i32_e32 v3, 31, v2
	v_lshlrev_b64 v[2:3], 2, v[2:3]
	v_add_co_u32_e32 v2, vcc, s0, v2
	s_waitcnt vmcnt(0)
	buffer_store_dword v0, off, s[20:23], 0 offset:364 ; 4-byte Folded Spill
	v_mov_b32_e32 v0, s1
	v_addc_co_u32_e32 v3, vcc, v0, v3, vcc
	global_load_dword v0, v[2:3], off
	v_add_u32_e32 v2, 0x3380, v1
	v_ashrrev_i32_e32 v3, 31, v2
	v_lshlrev_b64 v[2:3], 2, v[2:3]
	v_add_co_u32_e32 v2, vcc, s0, v2
	s_waitcnt vmcnt(0)
	buffer_store_dword v0, off, s[20:23], 0 offset:368 ; 4-byte Folded Spill
	v_mov_b32_e32 v0, s1
	v_addc_co_u32_e32 v3, vcc, v0, v3, vcc
	global_load_dword v0, v[2:3], off
	v_add_u32_e32 v2, 0x3400, v1
	v_ashrrev_i32_e32 v3, 31, v2
	v_lshlrev_b64 v[2:3], 2, v[2:3]
	v_add_co_u32_e32 v2, vcc, s0, v2
	s_waitcnt vmcnt(0)
	buffer_store_dword v0, off, s[20:23], 0 offset:372 ; 4-byte Folded Spill
	v_mov_b32_e32 v0, s1
	v_addc_co_u32_e32 v3, vcc, v0, v3, vcc
	global_load_dword v0, v[2:3], off
	v_add_u32_e32 v2, 0x3480, v1
	v_ashrrev_i32_e32 v3, 31, v2
	v_lshlrev_b64 v[2:3], 2, v[2:3]
	v_add_co_u32_e32 v2, vcc, s0, v2
	s_waitcnt vmcnt(0)
	buffer_store_dword v0, off, s[20:23], 0 offset:376 ; 4-byte Folded Spill
	v_mov_b32_e32 v0, s1
	v_addc_co_u32_e32 v3, vcc, v0, v3, vcc
	global_load_dword v0, v[2:3], off
	v_add_u32_e32 v2, 0x3500, v1
	v_ashrrev_i32_e32 v3, 31, v2
	v_lshlrev_b64 v[2:3], 2, v[2:3]
	v_add_co_u32_e32 v2, vcc, s0, v2
	s_waitcnt vmcnt(0)
	buffer_store_dword v0, off, s[20:23], 0 offset:380 ; 4-byte Folded Spill
	v_mov_b32_e32 v0, s1
	v_addc_co_u32_e32 v3, vcc, v0, v3, vcc
	global_load_dword v0, v[2:3], off
	v_add_u32_e32 v2, 0x3580, v1
	v_ashrrev_i32_e32 v3, 31, v2
	v_lshlrev_b64 v[2:3], 2, v[2:3]
	v_add_co_u32_e32 v2, vcc, s0, v2
	s_waitcnt vmcnt(0)
	buffer_store_dword v0, off, s[20:23], 0 offset:384 ; 4-byte Folded Spill
	v_mov_b32_e32 v0, s1
	v_addc_co_u32_e32 v3, vcc, v0, v3, vcc
	global_load_dword v0, v[2:3], off
	v_add_u32_e32 v2, 0x3600, v1
	v_ashrrev_i32_e32 v3, 31, v2
	v_lshlrev_b64 v[2:3], 2, v[2:3]
	v_add_co_u32_e32 v2, vcc, s0, v2
	s_waitcnt vmcnt(0)
	buffer_store_dword v0, off, s[20:23], 0 offset:388 ; 4-byte Folded Spill
	v_mov_b32_e32 v0, s1
	v_addc_co_u32_e32 v3, vcc, v0, v3, vcc
	global_load_dword v0, v[2:3], off
	v_add_u32_e32 v2, 0x3680, v1
	v_ashrrev_i32_e32 v3, 31, v2
	v_lshlrev_b64 v[2:3], 2, v[2:3]
	v_add_co_u32_e32 v2, vcc, s0, v2
	s_waitcnt vmcnt(0)
	buffer_store_dword v0, off, s[20:23], 0 offset:392 ; 4-byte Folded Spill
	v_mov_b32_e32 v0, s1
	v_addc_co_u32_e32 v3, vcc, v0, v3, vcc
	global_load_dword v0, v[2:3], off
	v_add_u32_e32 v2, 0x3700, v1
	v_ashrrev_i32_e32 v3, 31, v2
	v_lshlrev_b64 v[2:3], 2, v[2:3]
	v_add_co_u32_e32 v2, vcc, s0, v2
	s_waitcnt vmcnt(0)
	buffer_store_dword v0, off, s[20:23], 0 offset:396 ; 4-byte Folded Spill
	v_mov_b32_e32 v0, s1
	v_addc_co_u32_e32 v3, vcc, v0, v3, vcc
	global_load_dword v0, v[2:3], off
	v_add_u32_e32 v2, 0x3780, v1
	v_ashrrev_i32_e32 v3, 31, v2
	v_lshlrev_b64 v[2:3], 2, v[2:3]
	v_add_co_u32_e32 v2, vcc, s0, v2
	s_waitcnt vmcnt(0)
	buffer_store_dword v0, off, s[20:23], 0 offset:400 ; 4-byte Folded Spill
	v_mov_b32_e32 v0, s1
	v_addc_co_u32_e32 v3, vcc, v0, v3, vcc
	global_load_dword v0, v[2:3], off
	v_add_u32_e32 v2, 0x3800, v1
	v_ashrrev_i32_e32 v3, 31, v2
	v_lshlrev_b64 v[2:3], 2, v[2:3]
	v_add_co_u32_e32 v2, vcc, s0, v2
	s_waitcnt vmcnt(0)
	buffer_store_dword v0, off, s[20:23], 0 offset:404 ; 4-byte Folded Spill
	v_mov_b32_e32 v0, s1
	v_addc_co_u32_e32 v3, vcc, v0, v3, vcc
	global_load_dword v0, v[2:3], off
	v_add_u32_e32 v2, 0x3880, v1
	v_ashrrev_i32_e32 v3, 31, v2
	v_lshlrev_b64 v[2:3], 2, v[2:3]
	v_add_co_u32_e32 v2, vcc, s0, v2
	s_waitcnt vmcnt(0)
	buffer_store_dword v0, off, s[20:23], 0 offset:408 ; 4-byte Folded Spill
	v_mov_b32_e32 v0, s1
	v_addc_co_u32_e32 v3, vcc, v0, v3, vcc
	global_load_dword v0, v[2:3], off
	v_add_u32_e32 v2, 0x3900, v1
	v_ashrrev_i32_e32 v3, 31, v2
	v_lshlrev_b64 v[2:3], 2, v[2:3]
	v_add_co_u32_e32 v2, vcc, s0, v2
	s_waitcnt vmcnt(0)
	buffer_store_dword v0, off, s[20:23], 0 offset:412 ; 4-byte Folded Spill
	v_mov_b32_e32 v0, s1
	v_addc_co_u32_e32 v3, vcc, v0, v3, vcc
	global_load_dword v0, v[2:3], off
	v_add_u32_e32 v2, 0x3980, v1
	v_ashrrev_i32_e32 v3, 31, v2
	v_lshlrev_b64 v[2:3], 2, v[2:3]
	v_add_co_u32_e32 v2, vcc, s0, v2
	s_waitcnt vmcnt(0)
	buffer_store_dword v0, off, s[20:23], 0 offset:416 ; 4-byte Folded Spill
	v_mov_b32_e32 v0, s1
	v_addc_co_u32_e32 v3, vcc, v0, v3, vcc
	global_load_dword v0, v[2:3], off
	v_add_u32_e32 v2, 0x3a00, v1
	v_ashrrev_i32_e32 v3, 31, v2
	v_lshlrev_b64 v[2:3], 2, v[2:3]
	v_add_co_u32_e32 v2, vcc, s0, v2
	s_waitcnt vmcnt(0)
	buffer_store_dword v0, off, s[20:23], 0 offset:420 ; 4-byte Folded Spill
	v_mov_b32_e32 v0, s1
	v_addc_co_u32_e32 v3, vcc, v0, v3, vcc
	global_load_dword v0, v[2:3], off
	v_add_u32_e32 v2, 0x3a80, v1
	v_ashrrev_i32_e32 v3, 31, v2
	v_lshlrev_b64 v[2:3], 2, v[2:3]
	v_add_co_u32_e32 v2, vcc, s0, v2
	s_waitcnt vmcnt(0)
	buffer_store_dword v0, off, s[20:23], 0 offset:424 ; 4-byte Folded Spill
	v_mov_b32_e32 v0, s1
	v_addc_co_u32_e32 v3, vcc, v0, v3, vcc
	global_load_dword v0, v[2:3], off
	v_add_u32_e32 v2, 0x3b00, v1
	v_ashrrev_i32_e32 v3, 31, v2
	v_lshlrev_b64 v[2:3], 2, v[2:3]
	v_add_co_u32_e32 v2, vcc, s0, v2
	s_waitcnt vmcnt(0)
	buffer_store_dword v0, off, s[20:23], 0 offset:428 ; 4-byte Folded Spill
	v_mov_b32_e32 v0, s1
	v_addc_co_u32_e32 v3, vcc, v0, v3, vcc
	global_load_dword v0, v[2:3], off
	v_add_u32_e32 v2, 0x3b80, v1
	v_ashrrev_i32_e32 v3, 31, v2
	v_lshlrev_b64 v[2:3], 2, v[2:3]
	v_add_co_u32_e32 v2, vcc, s0, v2
	s_waitcnt vmcnt(0)
	buffer_store_dword v0, off, s[20:23], 0 offset:432 ; 4-byte Folded Spill
	v_mov_b32_e32 v0, s1
	v_addc_co_u32_e32 v3, vcc, v0, v3, vcc
	global_load_dword v0, v[2:3], off
	v_add_u32_e32 v2, 0x3c00, v1
	v_ashrrev_i32_e32 v3, 31, v2
	v_lshlrev_b64 v[2:3], 2, v[2:3]
	v_add_co_u32_e32 v2, vcc, s0, v2
	s_waitcnt vmcnt(0)
	buffer_store_dword v0, off, s[20:23], 0 offset:436 ; 4-byte Folded Spill
	v_mov_b32_e32 v0, s1
	v_addc_co_u32_e32 v3, vcc, v0, v3, vcc
	global_load_dword v0, v[2:3], off
	v_add_u32_e32 v2, 0x3c80, v1
	v_ashrrev_i32_e32 v3, 31, v2
	v_lshlrev_b64 v[2:3], 2, v[2:3]
	v_add_co_u32_e32 v2, vcc, s0, v2
	s_waitcnt vmcnt(0)
	buffer_store_dword v0, off, s[20:23], 0 offset:440 ; 4-byte Folded Spill
	v_mov_b32_e32 v0, s1
	v_addc_co_u32_e32 v3, vcc, v0, v3, vcc
	global_load_dword v0, v[2:3], off
	v_add_u32_e32 v2, 0x3d00, v1
	v_ashrrev_i32_e32 v3, 31, v2
	v_lshlrev_b64 v[2:3], 2, v[2:3]
	v_add_co_u32_e32 v2, vcc, s0, v2
	s_waitcnt vmcnt(0)
	buffer_store_dword v0, off, s[20:23], 0 offset:444 ; 4-byte Folded Spill
	v_mov_b32_e32 v0, s1
	v_addc_co_u32_e32 v3, vcc, v0, v3, vcc
	global_load_dword v5, v[2:3], off
	v_add_u32_e32 v2, 0x3d80, v1
	v_ashrrev_i32_e32 v3, 31, v2
	v_lshlrev_b64 v[2:3], 2, v[2:3]
	s_abs_i32 s1, s17
	v_add_co_u32_e32 v2, vcc, s0, v2
	v_addc_co_u32_e32 v3, vcc, v0, v3, vcc
	global_load_dword v6, v[2:3], off
	v_add_u32_e32 v2, 0x3e00, v1
	v_ashrrev_i32_e32 v3, 31, v2
	v_lshlrev_b64 v[2:3], 2, v[2:3]
	v_add_co_u32_e32 v2, vcc, s0, v2
	v_addc_co_u32_e32 v3, vcc, v0, v3, vcc
	global_load_dword v21, v[2:3], off
	v_add_u32_e32 v2, 0x3e80, v1
	v_ashrrev_i32_e32 v3, 31, v2
	v_lshlrev_b64 v[2:3], 2, v[2:3]
	v_add_co_u32_e32 v2, vcc, s0, v2
	v_addc_co_u32_e32 v3, vcc, v0, v3, vcc
	global_load_dword v22, v[2:3], off
	v_add_u32_e32 v2, 0x3f00, v1
	v_ashrrev_i32_e32 v3, 31, v2
	v_lshlrev_b64 v[2:3], 2, v[2:3]
	v_add_co_u32_e32 v2, vcc, s0, v2
	v_addc_co_u32_e32 v3, vcc, v0, v3, vcc
	global_load_dword v23, v[2:3], off
	v_add_u32_e32 v2, 0x3f80, v1
	v_ashrrev_i32_e32 v3, 31, v2
	v_lshlrev_b64 v[2:3], 2, v[2:3]
	v_add_co_u32_e32 v2, vcc, s0, v2
	v_addc_co_u32_e32 v3, vcc, v0, v3, vcc
	global_load_dword v24, v[2:3], off
	v_cvt_f32_u32_e32 v0, s8
	s_xor_b32 s0, s17, s16
	s_ashr_i32 s0, s0, 31
	v_rcp_iflag_f32_e32 v0, v0
	v_mul_f32_e32 v0, 0x4f7ffffe, v0
	v_cvt_u32_f32_e32 v0, v0
	v_readfirstlane_b32 s10, v0
	s_mul_i32 s9, s9, s10
	s_mul_hi_u32 s9, s10, s9
	s_add_i32 s10, s10, s9
	s_mul_hi_u32 s9, s1, s10
	s_mul_i32 s10, s9, s8
	s_sub_i32 s1, s1, s10
	s_add_i32 s10, s9, 1
	s_sub_i32 s11, s1, s8
	s_cmp_ge_u32 s1, s8
	s_cselect_b32 s9, s10, s9
	s_cselect_b32 s1, s11, s1
	s_add_i32 s10, s9, 1
	s_cmp_ge_u32 s1, s8
	s_cselect_b32 s1, s10, s9
	s_xor_b32 s1, s1, s0
	s_sub_i32 s0, s1, s0
	s_mul_i32 s0, s0, s18
	s_mul_i32 s1, s0, s7
	s_add_i32 s7, s7, 1
	v_lshl_add_u32 v0, s6, 7, v4
	s_mul_i32 s0, s0, s7
	v_add_u32_e32 v2, s1, v0
	v_add_u32_e32 v0, s0, v0
	v_cmp_lt_i32_e32 vcc, v2, v0
	s_and_saveexec_b64 s[0:1], vcc
	s_cbranch_execz .LBB1_4
; %bb.1:
	buffer_store_dword v1, off, s[20:23], 0 offset:528 ; 4-byte Folded Spill
	s_nop 0
	buffer_store_dword v2, off, s[20:23], 0 offset:532 ; 4-byte Folded Spill
	s_load_dword s16, s[4:5], 0x10
	s_load_dwordx8 s[8:15], s[4:5], 0x18
	v_lshlrev_b32_e32 v1, 2, v4
	buffer_store_dword v0, off, s[20:23], 0 offset:520 ; 4-byte Folded Spill
	buffer_store_dword v1, off, s[20:23], 0 offset:524 ; 4-byte Folded Spill
	s_ashr_i32 s19, s18, 31
	s_lshl_b64 s[6:7], s[18:19], 2
	s_mov_b64 s[4:5], 0
	v_ashrrev_i32_e32 v3, 31, v2
	v_mov_b32_e32 v0, v2
	buffer_store_dword v0, off, s[20:23], 0 offset:512 ; 4-byte Folded Spill
	s_nop 0
	buffer_store_dword v1, off, s[20:23], 0 offset:516 ; 4-byte Folded Spill
	v_lshlrev_b64 v[3:4], 2, v[2:3]
	v_mov_b32_e32 v0, 0
	buffer_store_dword v30, off, s[20:23], 0 offset:464 ; 4-byte Folded Spill
	buffer_store_dword v32, off, s[20:23], 0 offset:448 ; 4-byte Folded Spill
	buffer_store_dword v34, off, s[20:23], 0 offset:452 ; 4-byte Folded Spill
	buffer_store_dword v31, off, s[20:23], 0 offset:308 ; 4-byte Folded Spill
	buffer_store_dword v33, off, s[20:23], 0 offset:456 ; 4-byte Folded Spill
	buffer_store_dword v35, off, s[20:23], 0 offset:460 ; 4-byte Folded Spill
	buffer_store_dword v49, off, s[20:23], 0 offset:476 ; 4-byte Folded Spill
	buffer_store_dword v50, off, s[20:23], 0 offset:232 ; 4-byte Folded Spill
	buffer_store_dword v51, off, s[20:23], 0 offset:236 ; 4-byte Folded Spill
	buffer_store_dword v52, off, s[20:23], 0 offset:480 ; 4-byte Folded Spill
	buffer_store_dword v53, off, s[20:23], 0 offset:240 ; 4-byte Folded Spill
	buffer_store_dword v54, off, s[20:23], 0 offset:244 ; 4-byte Folded Spill
	buffer_store_dword v55, off, s[20:23], 0 offset:248 ; 4-byte Folded Spill
	buffer_store_dword v56, off, s[20:23], 0 offset:252 ; 4-byte Folded Spill
	buffer_store_dword v57, off, s[20:23], 0 offset:484 ; 4-byte Folded Spill
	buffer_store_dword v58, off, s[20:23], 0 offset:256 ; 4-byte Folded Spill
	buffer_store_dword v59, off, s[20:23], 0 offset:260 ; 4-byte Folded Spill
	buffer_store_dword v60, off, s[20:23], 0 offset:264 ; 4-byte Folded Spill
	buffer_store_dword v61, off, s[20:23], 0 offset:268 ; 4-byte Folded Spill
	buffer_store_dword v62, off, s[20:23], 0 offset:272 ; 4-byte Folded Spill
	buffer_store_dword v63, off, s[20:23], 0 offset:276 ; 4-byte Folded Spill
	buffer_store_dword v7, off, s[20:23], 0 offset:468 ; 4-byte Folded Spill
	buffer_store_dword v8, off, s[20:23], 0 offset:168 ; 4-byte Folded Spill
	buffer_store_dword v9, off, s[20:23], 0 offset:172 ; 4-byte Folded Spill
	buffer_store_dword v10, off, s[20:23], 0 offset:176 ; 4-byte Folded Spill
	buffer_store_dword v11, off, s[20:23], 0 offset:180 ; 4-byte Folded Spill
	buffer_store_dword v12, off, s[20:23], 0 offset:184 ; 4-byte Folded Spill
	buffer_store_dword v13, off, s[20:23], 0 offset:188 ; 4-byte Folded Spill
	buffer_store_dword v14, off, s[20:23], 0 offset:192 ; 4-byte Folded Spill
	buffer_store_dword v15, off, s[20:23], 0 offset:472 ; 4-byte Folded Spill
	buffer_store_dword v16, off, s[20:23], 0 offset:196 ; 4-byte Folded Spill
	buffer_store_dword v17, off, s[20:23], 0 offset:200 ; 4-byte Folded Spill
	buffer_store_dword v18, off, s[20:23], 0 offset:204 ; 4-byte Folded Spill
	buffer_store_dword v19, off, s[20:23], 0 offset:208 ; 4-byte Folded Spill
	buffer_store_dword v20, off, s[20:23], 0 offset:212 ; 4-byte Folded Spill
	buffer_store_dword v25, off, s[20:23], 0 offset:300 ; 4-byte Folded Spill
	buffer_store_dword v26, off, s[20:23], 0 offset:216 ; 4-byte Folded Spill
	buffer_store_dword v27, off, s[20:23], 0 offset:220 ; 4-byte Folded Spill
	buffer_store_dword v28, off, s[20:23], 0 offset:224 ; 4-byte Folded Spill
	buffer_store_dword v29, off, s[20:23], 0 offset:228 ; 4-byte Folded Spill
	s_waitcnt vmcnt(51)
	buffer_store_dword v5, off, s[20:23], 0 offset:488 ; 4-byte Folded Spill
	s_waitcnt vmcnt(51)
	buffer_store_dword v6, off, s[20:23], 0 offset:492 ; 4-byte Folded Spill
	;; [unrolled: 2-line block ×6, first 2 shown]
.LBB1_2:                                ; =>This Inner Loop Header: Depth=1
	s_waitcnt lgkmcnt(0)
	v_mov_b32_e32 v6, s9
	v_add_co_u32_e32 v5, vcc, s8, v3
	v_addc_co_u32_e32 v6, vcc, v6, v4, vcc
	v_mov_b32_e32 v22, s13
	v_add_co_u32_e32 v21, vcc, s12, v3
	v_addc_co_u32_e32 v22, vcc, v22, v4, vcc
	;; [unrolled: 3-line block ×3, first 2 shown]
	s_waitcnt vmcnt(0)
	s_barrier
	global_load_dword v5, v[5:6], off
	s_nop 0
	global_load_dword v6, v[21:22], off
	s_nop 0
	global_load_dword v21, v[23:24], off
	buffer_load_dword v22, off, s[20:23], 0 offset:524 ; 4-byte Folded Reload
	s_waitcnt vmcnt(0)
	ds_write_b32 v22, v5
	v_add_u32_e32 v5, 0x200, v22
	ds_write_b32 v5, v6
	v_add_u32_e32 v5, 0x400, v22
	ds_write_b32 v5, v21
	s_waitcnt lgkmcnt(0)
	s_barrier
	buffer_load_dword v1, off, s[20:23], 0 offset:312 ; 4-byte Folded Reload
	buffer_load_dword v17, off, s[20:23], 0 offset:456 ; 4-byte Folded Reload
	ds_read_b128 v[21:24], v0 offset:1024
	buffer_load_dword v16, off, s[20:23], 0 offset:316 ; 4-byte Folded Reload
	v_mov_b32_e32 v6, s11
	v_add_co_u32_e32 v5, vcc, s10, v3
	v_addc_co_u32_e32 v6, vcc, v6, v4, vcc
	global_load_dword v5, v[5:6], off
	s_waitcnt vmcnt(3) lgkmcnt(0)
	v_mul_f32_e32 v7, v1, v22
	buffer_load_dword v1, off, s[20:23], 0 offset:460 ; 4-byte Folded Reload
	s_waitcnt vmcnt(3)
	v_mul_f32_e32 v17, v17, v24
	v_mov_b32_e32 v6, v7
	buffer_load_dword v53, off, s[20:23], 0 offset:348 ; 4-byte Folded Reload
	buffer_load_dword v51, off, s[20:23], 0 offset:352 ; 4-byte Folded Reload
	;; [unrolled: 1-line block ×31, first 2 shown]
	s_waitcnt vmcnt(31)
	v_mul_f32_e32 v2, v1, v23
	buffer_load_dword v1, off, s[20:23], 0 offset:308 ; 4-byte Folded Reload
	v_mul_f32_e32 v16, v16, v21
	ds_read_b128 v[21:24], v0 offset:1040
	s_waitcnt vmcnt(0) lgkmcnt(0)
	v_mul_f32_e32 v8, v1, v21
	buffer_load_dword v1, off, s[20:23], 0 offset:452 ; 4-byte Folded Reload
	s_waitcnt vmcnt(0)
	v_mul_f32_e32 v9, v1, v22
	buffer_load_dword v1, off, s[20:23], 0 offset:448 ; 4-byte Folded Reload
	s_waitcnt vmcnt(0)
	;; [unrolled: 3-line block ×3, first 2 shown]
	v_mul_f32_e32 v11, v1, v24
	buffer_load_dword v1, off, s[20:23], 0 offset:320 ; 4-byte Folded Reload
	ds_read_b128 v[21:24], v0 offset:1056
	s_waitcnt vmcnt(0) lgkmcnt(0)
	v_mul_f32_e32 v12, v1, v21
	buffer_load_dword v1, off, s[20:23], 0 offset:324 ; 4-byte Folded Reload
	s_waitcnt vmcnt(0)
	v_mul_f32_e32 v13, v1, v22
	buffer_load_dword v1, off, s[20:23], 0 offset:328 ; 4-byte Folded Reload
	s_waitcnt vmcnt(0)
	v_mul_f32_e32 v14, v1, v23
	buffer_load_dword v1, off, s[20:23], 0 offset:332 ; 4-byte Folded Reload
	s_waitcnt vmcnt(0)
	v_mul_f32_e32 v50, v1, v24
	buffer_load_dword v1, off, s[20:23], 0 offset:304 ; 4-byte Folded Reload
	ds_read_b128 v[21:24], v0 offset:1072
	s_waitcnt vmcnt(0) lgkmcnt(0)
	v_mul_f32_e32 v15, v1, v21
	buffer_load_dword v1, off, s[20:23], 0 offset:336 ; 4-byte Folded Reload
	s_waitcnt vmcnt(0)
	v_mul_f32_e32 v54, v1, v22
	buffer_load_dword v1, off, s[20:23], 0  ; 4-byte Folded Reload
	s_waitcnt vmcnt(0)
	v_mul_f32_e32 v1, v1, v23
	buffer_store_dword v1, off, s[20:23], 0 ; 4-byte Folded Spill
	buffer_load_dword v1, off, s[20:23], 0 offset:4 ; 4-byte Folded Reload
	s_waitcnt vmcnt(0)
	v_mul_f32_e32 v1, v1, v24
	buffer_store_dword v1, off, s[20:23], 0 offset:4 ; 4-byte Folded Spill
	buffer_load_dword v1, off, s[20:23], 0 offset:8 ; 4-byte Folded Reload
	ds_read_b128 v[21:24], v0 offset:1088
	s_waitcnt vmcnt(0) lgkmcnt(0)
	v_mul_f32_e32 v1, v1, v21
	buffer_store_dword v1, off, s[20:23], 0 offset:8 ; 4-byte Folded Spill
	buffer_load_dword v1, off, s[20:23], 0 offset:340 ; 4-byte Folded Reload
	s_waitcnt vmcnt(0)
	v_mul_f32_e32 v55, v1, v22
	buffer_load_dword v1, off, s[20:23], 0 offset:12 ; 4-byte Folded Reload
	buffer_load_dword v63, off, s[20:23], 0 offset:8 ; 4-byte Folded Reload
	s_waitcnt vmcnt(1)
	v_mul_f32_e32 v1, v1, v23
	buffer_store_dword v1, off, s[20:23], 0 offset:12 ; 4-byte Folded Spill
	buffer_load_dword v1, off, s[20:23], 0 offset:16 ; 4-byte Folded Reload
	s_waitcnt vmcnt(0)
	v_mul_f32_e32 v1, v1, v24
	buffer_store_dword v1, off, s[20:23], 0 offset:16 ; 4-byte Folded Spill
	buffer_load_dword v1, off, s[20:23], 0 offset:344 ; 4-byte Folded Reload
	ds_read_b128 v[21:24], v0 offset:1104
	s_waitcnt vmcnt(0) lgkmcnt(0)
	v_mul_f32_e32 v56, v1, v21
	buffer_load_dword v1, off, s[20:23], 0 offset:20 ; 4-byte Folded Reload
	s_waitcnt vmcnt(0)
	v_mul_f32_e32 v1, v1, v22
	buffer_store_dword v1, off, s[20:23], 0 offset:20 ; 4-byte Folded Spill
	buffer_load_dword v1, off, s[20:23], 0 offset:24 ; 4-byte Folded Reload
	s_waitcnt vmcnt(0)
	v_mul_f32_e32 v1, v1, v23
	buffer_store_dword v1, off, s[20:23], 0 offset:24 ; 4-byte Folded Spill
	buffer_load_dword v1, off, s[20:23], 0 offset:28 ; 4-byte Folded Reload
	s_waitcnt vmcnt(0)
	v_mul_f32_e32 v1, v1, v24
	buffer_store_dword v1, off, s[20:23], 0 offset:28 ; 4-byte Folded Spill
	buffer_load_dword v1, off, s[20:23], 0 offset:32 ; 4-byte Folded Reload
	ds_read_b128 v[21:24], v0 offset:1120
	s_waitcnt vmcnt(0) lgkmcnt(0)
	v_mul_f32_e32 v1, v1, v21
	buffer_store_dword v1, off, s[20:23], 0 offset:32 ; 4-byte Folded Spill
	buffer_load_dword v1, off, s[20:23], 0 offset:476 ; 4-byte Folded Reload
	s_waitcnt vmcnt(0)
	v_mul_f32_e32 v57, v1, v22
	buffer_load_dword v1, off, s[20:23], 0 offset:232 ; 4-byte Folded Reload
	buffer_load_dword v62, off, s[20:23], 0 offset:32 ; 4-byte Folded Reload
	s_waitcnt vmcnt(1)
	v_mul_f32_e32 v1, v1, v23
	buffer_store_dword v1, off, s[20:23], 0 offset:232 ; 4-byte Folded Spill
	buffer_load_dword v1, off, s[20:23], 0 offset:236 ; 4-byte Folded Reload
	s_waitcnt vmcnt(0)
	v_mul_f32_e32 v1, v1, v24
	buffer_store_dword v1, off, s[20:23], 0 offset:236 ; 4-byte Folded Spill
	buffer_load_dword v1, off, s[20:23], 0 offset:480 ; 4-byte Folded Reload
	ds_read_b128 v[21:24], v0 offset:1136
	s_waitcnt vmcnt(0) lgkmcnt(0)
	v_mul_f32_e32 v58, v1, v21
	buffer_load_dword v1, off, s[20:23], 0 offset:240 ; 4-byte Folded Reload
	v_mov_b32_e32 v7, v58
	s_waitcnt vmcnt(0)
	v_mul_f32_e32 v1, v1, v22
	buffer_store_dword v1, off, s[20:23], 0 offset:240 ; 4-byte Folded Spill
	buffer_load_dword v1, off, s[20:23], 0 offset:244 ; 4-byte Folded Reload
	s_waitcnt vmcnt(0)
	v_mul_f32_e32 v1, v1, v23
	buffer_store_dword v1, off, s[20:23], 0 offset:244 ; 4-byte Folded Spill
	buffer_load_dword v1, off, s[20:23], 0 offset:248 ; 4-byte Folded Reload
	;; [unrolled: 4-line block ×3, first 2 shown]
	ds_read_b128 v[21:24], v0 offset:1152
	s_waitcnt vmcnt(0) lgkmcnt(0)
	v_mul_f32_e32 v1, v1, v21
	buffer_store_dword v1, off, s[20:23], 0 offset:252 ; 4-byte Folded Spill
	buffer_load_dword v1, off, s[20:23], 0 offset:484 ; 4-byte Folded Reload
	s_waitcnt vmcnt(0)
	v_mul_f32_e32 v59, v1, v22
	buffer_load_dword v1, off, s[20:23], 0 offset:256 ; 4-byte Folded Reload
	buffer_load_dword v58, off, s[20:23], 0 offset:252 ; 4-byte Folded Reload
	s_waitcnt vmcnt(1)
	v_mul_f32_e32 v1, v1, v23
	buffer_store_dword v1, off, s[20:23], 0 offset:256 ; 4-byte Folded Spill
	buffer_load_dword v1, off, s[20:23], 0 offset:260 ; 4-byte Folded Reload
	s_waitcnt vmcnt(0)
	v_mul_f32_e32 v1, v1, v24
	buffer_store_dword v1, off, s[20:23], 0 offset:260 ; 4-byte Folded Spill
	buffer_load_dword v1, off, s[20:23], 0 offset:264 ; 4-byte Folded Reload
	ds_read_b128 v[21:24], v0 offset:1168
	s_waitcnt vmcnt(0) lgkmcnt(0)
	v_mul_f32_e32 v1, v1, v21
	buffer_store_dword v1, off, s[20:23], 0 offset:264 ; 4-byte Folded Spill
	buffer_load_dword v1, off, s[20:23], 0 offset:268 ; 4-byte Folded Reload
	s_waitcnt vmcnt(0)
	v_mul_f32_e32 v1, v1, v22
	buffer_store_dword v1, off, s[20:23], 0 offset:268 ; 4-byte Folded Spill
	buffer_load_dword v1, off, s[20:23], 0 offset:272 ; 4-byte Folded Reload
	s_waitcnt vmcnt(0)
	v_mul_f32_e32 v1, v1, v23
	buffer_store_dword v1, off, s[20:23], 0 offset:272 ; 4-byte Folded Spill
	buffer_load_dword v1, off, s[20:23], 0 offset:276 ; 4-byte Folded Reload
	s_waitcnt vmcnt(0)
	v_mul_f32_e32 v1, v1, v24
	buffer_store_dword v1, off, s[20:23], 0 offset:276 ; 4-byte Folded Spill
	buffer_load_dword v1, off, s[20:23], 0 offset:468 ; 4-byte Folded Reload
	ds_read_b128 v[21:24], v0 offset:1184
	s_waitcnt vmcnt(0) lgkmcnt(0)
	v_mul_f32_e32 v60, v1, v21
	buffer_load_dword v1, off, s[20:23], 0 offset:168 ; 4-byte Folded Reload
	s_waitcnt vmcnt(0)
	v_mul_f32_e32 v1, v1, v22
	buffer_store_dword v1, off, s[20:23], 0 offset:168 ; 4-byte Folded Spill
	buffer_load_dword v1, off, s[20:23], 0 offset:172 ; 4-byte Folded Reload
	s_waitcnt vmcnt(0)
	v_mul_f32_e32 v1, v1, v23
	buffer_store_dword v1, off, s[20:23], 0 offset:172 ; 4-byte Folded Spill
	;; [unrolled: 4-line block ×3, first 2 shown]
	buffer_load_dword v1, off, s[20:23], 0 offset:180 ; 4-byte Folded Reload
	ds_read_b128 v[21:24], v0 offset:1200
	s_waitcnt vmcnt(0) lgkmcnt(0)
	v_mul_f32_e32 v1, v1, v21
	buffer_store_dword v1, off, s[20:23], 0 offset:180 ; 4-byte Folded Spill
	buffer_load_dword v1, off, s[20:23], 0 offset:184 ; 4-byte Folded Reload
	s_waitcnt vmcnt(0)
	v_mul_f32_e32 v1, v1, v22
	buffer_store_dword v1, off, s[20:23], 0 offset:184 ; 4-byte Folded Spill
	buffer_load_dword v1, off, s[20:23], 0 offset:188 ; 4-byte Folded Reload
	s_waitcnt vmcnt(0)
	;; [unrolled: 4-line block ×3, first 2 shown]
	v_mul_f32_e32 v1, v1, v24
	buffer_store_dword v1, off, s[20:23], 0 offset:192 ; 4-byte Folded Spill
	buffer_load_dword v1, off, s[20:23], 0 offset:472 ; 4-byte Folded Reload
	ds_read_b128 v[21:24], v0 offset:1216
	s_waitcnt vmcnt(0) lgkmcnt(0)
	v_mul_f32_e32 v61, v1, v21
	buffer_load_dword v1, off, s[20:23], 0 offset:196 ; 4-byte Folded Reload
	s_waitcnt vmcnt(0)
	v_mul_f32_e32 v1, v1, v22
	buffer_store_dword v1, off, s[20:23], 0 offset:196 ; 4-byte Folded Spill
	buffer_load_dword v1, off, s[20:23], 0 offset:200 ; 4-byte Folded Reload
	s_waitcnt vmcnt(0)
	v_mul_f32_e32 v1, v1, v23
	buffer_store_dword v1, off, s[20:23], 0 offset:200 ; 4-byte Folded Spill
	buffer_load_dword v1, off, s[20:23], 0 offset:204 ; 4-byte Folded Reload
	s_waitcnt vmcnt(0)
	v_mul_f32_e32 v1, v1, v24
	buffer_store_dword v1, off, s[20:23], 0 offset:204 ; 4-byte Folded Spill
	buffer_load_dword v1, off, s[20:23], 0 offset:208 ; 4-byte Folded Reload
	ds_read_b128 v[21:24], v0 offset:1232
	s_waitcnt vmcnt(0) lgkmcnt(0)
	v_mul_f32_e32 v1, v1, v21
	buffer_store_dword v1, off, s[20:23], 0 offset:208 ; 4-byte Folded Spill
	buffer_load_dword v1, off, s[20:23], 0 offset:36 ; 4-byte Folded Reload
	s_waitcnt vmcnt(0)
	v_mul_f32_e32 v1, v1, v22
	buffer_store_dword v1, off, s[20:23], 0 offset:36 ; 4-byte Folded Spill
	buffer_load_dword v1, off, s[20:23], 0 offset:212 ; 4-byte Folded Reload
	s_waitcnt vmcnt(0)
	v_mul_f32_e32 v1, v1, v23
	buffer_store_dword v1, off, s[20:23], 0 offset:212 ; 4-byte Folded Spill
	buffer_load_dword v1, off, s[20:23], 0 offset:40 ; 4-byte Folded Reload
	s_waitcnt vmcnt(0)
	v_mul_f32_e32 v1, v1, v24
	buffer_store_dword v1, off, s[20:23], 0 offset:40 ; 4-byte Folded Spill
	buffer_load_dword v1, off, s[20:23], 0 offset:300 ; 4-byte Folded Reload
	ds_read_b128 v[21:24], v0 offset:1248
	s_waitcnt vmcnt(0) lgkmcnt(0)
	v_mul_f32_e32 v1, v1, v21
	buffer_store_dword v1, off, s[20:23], 0 offset:300 ; 4-byte Folded Spill
	;; [unrolled: 17-line block ×11, first 2 shown]
	buffer_load_dword v1, off, s[20:23], 0 offset:156 ; 4-byte Folded Reload
	s_waitcnt vmcnt(0)
	v_mul_f32_e32 v1, v1, v22
	buffer_store_dword v1, off, s[20:23], 0 offset:156 ; 4-byte Folded Spill
	buffer_load_dword v1, off, s[20:23], 0 offset:160 ; 4-byte Folded Reload
	s_waitcnt vmcnt(0)
	v_mul_f32_e32 v1, v1, v23
	buffer_store_dword v1, off, s[20:23], 0 offset:160 ; 4-byte Folded Spill
	;; [unrolled: 4-line block ×3, first 2 shown]
	buffer_load_dword v1, off, s[20:23], 0 offset:296 ; 4-byte Folded Reload
	ds_read_b128 v[21:24], v0 offset:1408
	s_waitcnt lgkmcnt(0)
	v_mul_f32_e32 v53, v53, v21
	v_mul_f32_e32 v51, v51, v23
	;; [unrolled: 1-line block ×3, first 2 shown]
	s_waitcnt vmcnt(0)
	v_mul_f32_e32 v1, v1, v22
	ds_read_b128 v[21:24], v0 offset:1424
	buffer_store_dword v1, off, s[20:23], 0 offset:296 ; 4-byte Folded Spill
	v_mov_b32_e32 v1, v2
	v_mov_b32_e32 v2, v56
	buffer_load_dword v56, off, s[20:23], 0 offset:68 ; 4-byte Folded Reload
	s_waitcnt lgkmcnt(0)
	v_mul_f32_e32 v49, v49, v21
	v_mul_f32_e32 v48, v48, v22
	v_mul_f32_e32 v47, v47, v23
	v_mul_f32_e32 v46, v46, v24
	ds_read_b128 v[21:24], v0 offset:1440
	s_waitcnt lgkmcnt(0)
	v_mul_f32_e32 v45, v45, v21
	v_mul_f32_e32 v42, v42, v22
	v_mul_f32_e32 v43, v43, v23
	v_mul_f32_e32 v44, v44, v24
	ds_read_b128 v[21:24], v0 offset:1456
	;; [unrolled: 6-line block ×6, first 2 shown]
	s_waitcnt lgkmcnt(0)
	v_mul_f32_e32 v25, v25, v21
	v_mul_f32_e32 v20, v20, v22
	;; [unrolled: 1-line block ×4, first 2 shown]
	ds_read_b128 v[21:24], v0
	s_waitcnt lgkmcnt(0)
	v_fmac_f32_e32 v16, v5, v21
	v_fmac_f32_e32 v6, v5, v22
	;; [unrolled: 1-line block ×4, first 2 shown]
	ds_read_b128 v[21:24], v0 offset:16
	buffer_store_dword v1, off, s[20:23], 0 offset:460 ; 4-byte Folded Spill
	buffer_store_dword v6, off, s[20:23], 0 offset:312 ; 4-byte Folded Spill
	;; [unrolled: 1-line block ×4, first 2 shown]
	s_waitcnt lgkmcnt(0)
	v_fmac_f32_e32 v8, v5, v21
	buffer_store_dword v8, off, s[20:23], 0 offset:308 ; 4-byte Folded Spill
	v_mov_b32_e32 v8, v9
	v_mov_b32_e32 v9, v10
	v_mov_b32_e32 v10, v11
	v_fmac_f32_e32 v8, v5, v22
	v_fmac_f32_e32 v9, v5, v23
	;; [unrolled: 1-line block ×3, first 2 shown]
	ds_read_b128 v[21:24], v0 offset:32
	v_mov_b32_e32 v11, v12
	v_mov_b32_e32 v12, v13
	v_mov_b32_e32 v13, v14
	v_mov_b32_e32 v14, v50
	s_waitcnt lgkmcnt(0)
	v_fmac_f32_e32 v11, v5, v21
	v_fmac_f32_e32 v12, v5, v22
	;; [unrolled: 1-line block ×4, first 2 shown]
	ds_read_b128 v[21:24], v0 offset:48
	buffer_load_dword v50, off, s[20:23], 0 offset:152 ; 4-byte Folded Reload
	s_waitcnt lgkmcnt(0)
	v_fmac_f32_e32 v15, v5, v21
	buffer_load_dword v21, off, s[20:23], 0 ; 4-byte Folded Reload
	s_waitcnt vmcnt(0)
	v_fmac_f32_e32 v21, v5, v23
	buffer_store_dword v21, off, s[20:23], 0 ; 4-byte Folded Spill
	buffer_load_dword v21, off, s[20:23], 0 offset:4 ; 4-byte Folded Reload
	s_waitcnt vmcnt(0)
	v_fmac_f32_e32 v21, v5, v24
	buffer_store_dword v15, off, s[20:23], 0 offset:304 ; 4-byte Folded Spill
	v_mov_b32_e32 v15, v54
	v_fmac_f32_e32 v15, v5, v22
	buffer_store_dword v21, off, s[20:23], 0 offset:4 ; 4-byte Folded Spill
	ds_read_b128 v[21:24], v0 offset:64
	buffer_load_dword v54, off, s[20:23], 0 offset:124 ; 4-byte Folded Reload
	s_waitcnt lgkmcnt(0)
	v_fmac_f32_e32 v63, v5, v21
	buffer_load_dword v21, off, s[20:23], 0 offset:12 ; 4-byte Folded Reload
	s_nop 0
	buffer_store_dword v63, off, s[20:23], 0 offset:8 ; 4-byte Folded Spill
	v_mov_b32_e32 v63, v55
	buffer_load_dword v55, off, s[20:23], 0 offset:96 ; 4-byte Folded Reload
	v_fmac_f32_e32 v63, v5, v22
	buffer_store_dword v8, off, s[20:23], 0 offset:452 ; 4-byte Folded Spill
	buffer_store_dword v9, off, s[20:23], 0 offset:448 ; 4-byte Folded Spill
	buffer_store_dword v10, off, s[20:23], 0 offset:464 ; 4-byte Folded Spill
	buffer_store_dword v11, off, s[20:23], 0 offset:320 ; 4-byte Folded Spill
	buffer_store_dword v12, off, s[20:23], 0 offset:324 ; 4-byte Folded Spill
	buffer_store_dword v13, off, s[20:23], 0 offset:328 ; 4-byte Folded Spill
	buffer_store_dword v14, off, s[20:23], 0 offset:332 ; 4-byte Folded Spill
	buffer_store_dword v15, off, s[20:23], 0 offset:336 ; 4-byte Folded Spill
	s_waitcnt vmcnt(10)
	v_fmac_f32_e32 v21, v5, v23
	buffer_store_dword v21, off, s[20:23], 0 offset:12 ; 4-byte Folded Spill
	buffer_load_dword v21, off, s[20:23], 0 offset:16 ; 4-byte Folded Reload
	s_waitcnt vmcnt(0)
	v_fmac_f32_e32 v21, v5, v24
	buffer_store_dword v21, off, s[20:23], 0 offset:16 ; 4-byte Folded Spill
	ds_read_b128 v[21:24], v0 offset:80
	s_waitcnt lgkmcnt(0)
	v_fmac_f32_e32 v2, v5, v21
	buffer_load_dword v21, off, s[20:23], 0 offset:20 ; 4-byte Folded Reload
	s_waitcnt vmcnt(0)
	v_fmac_f32_e32 v21, v5, v22
	buffer_store_dword v21, off, s[20:23], 0 offset:20 ; 4-byte Folded Spill
	buffer_load_dword v21, off, s[20:23], 0 offset:24 ; 4-byte Folded Reload
	s_waitcnt vmcnt(0)
	v_fmac_f32_e32 v21, v5, v23
	buffer_store_dword v21, off, s[20:23], 0 offset:24 ; 4-byte Folded Spill
	;; [unrolled: 4-line block ×3, first 2 shown]
	ds_read_b128 v[21:24], v0 offset:96
	buffer_store_dword v2, off, s[20:23], 0 offset:344 ; 4-byte Folded Spill
	s_waitcnt lgkmcnt(0)
	v_fmac_f32_e32 v62, v5, v21
	buffer_load_dword v21, off, s[20:23], 0 offset:232 ; 4-byte Folded Reload
	s_waitcnt vmcnt(0)
	v_fmac_f32_e32 v21, v5, v23
	buffer_store_dword v21, off, s[20:23], 0 offset:232 ; 4-byte Folded Spill
	buffer_load_dword v21, off, s[20:23], 0 offset:236 ; 4-byte Folded Reload
	s_waitcnt vmcnt(0)
	v_fmac_f32_e32 v21, v5, v24
	buffer_store_dword v62, off, s[20:23], 0 offset:32 ; 4-byte Folded Spill
	v_mov_b32_e32 v62, v57
	v_fmac_f32_e32 v62, v5, v22
	buffer_store_dword v21, off, s[20:23], 0 offset:236 ; 4-byte Folded Spill
	ds_read_b128 v[21:24], v0 offset:112
	buffer_load_dword v57, off, s[20:23], 0 offset:228 ; 4-byte Folded Reload
	s_waitcnt lgkmcnt(0)
	v_fmac_f32_e32 v7, v5, v21
	buffer_load_dword v21, off, s[20:23], 0 offset:240 ; 4-byte Folded Reload
	s_waitcnt vmcnt(0)
	v_fmac_f32_e32 v21, v5, v22
	buffer_store_dword v21, off, s[20:23], 0 offset:240 ; 4-byte Folded Spill
	buffer_load_dword v21, off, s[20:23], 0 offset:244 ; 4-byte Folded Reload
	s_waitcnt vmcnt(0)
	v_fmac_f32_e32 v21, v5, v23
	buffer_store_dword v21, off, s[20:23], 0 offset:244 ; 4-byte Folded Spill
	;; [unrolled: 4-line block ×3, first 2 shown]
	ds_read_b128 v[21:24], v0 offset:128
	buffer_store_dword v7, off, s[20:23], 0 offset:480 ; 4-byte Folded Spill
	s_waitcnt lgkmcnt(0)
	v_fmac_f32_e32 v58, v5, v21
	buffer_load_dword v21, off, s[20:23], 0 offset:256 ; 4-byte Folded Reload
	s_nop 0
	buffer_store_dword v58, off, s[20:23], 0 offset:252 ; 4-byte Folded Spill
	v_mov_b32_e32 v58, v59
	buffer_load_dword v59, off, s[20:23], 0 offset:264 ; 4-byte Folded Reload
	v_fmac_f32_e32 v58, v5, v22
	s_waitcnt vmcnt(2)
	v_fmac_f32_e32 v21, v5, v23
	buffer_store_dword v21, off, s[20:23], 0 offset:256 ; 4-byte Folded Spill
	buffer_load_dword v21, off, s[20:23], 0 offset:260 ; 4-byte Folded Reload
	s_waitcnt vmcnt(0)
	v_fmac_f32_e32 v21, v5, v24
	buffer_store_dword v21, off, s[20:23], 0 offset:260 ; 4-byte Folded Spill
	ds_read_b128 v[21:24], v0 offset:144
	s_waitcnt lgkmcnt(0)
	v_fmac_f32_e32 v59, v5, v21
	buffer_load_dword v21, off, s[20:23], 0 offset:268 ; 4-byte Folded Reload
	s_waitcnt vmcnt(0)
	v_fmac_f32_e32 v21, v5, v22
	buffer_store_dword v21, off, s[20:23], 0 offset:268 ; 4-byte Folded Spill
	buffer_load_dword v21, off, s[20:23], 0 offset:272 ; 4-byte Folded Reload
	s_waitcnt vmcnt(0)
	v_fmac_f32_e32 v21, v5, v23
	buffer_store_dword v21, off, s[20:23], 0 offset:272 ; 4-byte Folded Spill
	;; [unrolled: 4-line block ×3, first 2 shown]
	ds_read_b128 v[21:24], v0 offset:160
	buffer_store_dword v59, off, s[20:23], 0 offset:264 ; 4-byte Folded Spill
	v_mov_b32_e32 v59, v60
	buffer_load_dword v60, off, s[20:23], 0 offset:180 ; 4-byte Folded Reload
	s_waitcnt lgkmcnt(0)
	v_fmac_f32_e32 v59, v5, v21
	buffer_load_dword v21, off, s[20:23], 0 offset:168 ; 4-byte Folded Reload
	s_waitcnt vmcnt(0)
	v_fmac_f32_e32 v21, v5, v22
	buffer_store_dword v21, off, s[20:23], 0 offset:168 ; 4-byte Folded Spill
	buffer_load_dword v21, off, s[20:23], 0 offset:172 ; 4-byte Folded Reload
	s_waitcnt vmcnt(0)
	v_fmac_f32_e32 v21, v5, v23
	buffer_store_dword v21, off, s[20:23], 0 offset:172 ; 4-byte Folded Spill
	;; [unrolled: 4-line block ×3, first 2 shown]
	ds_read_b128 v[21:24], v0 offset:176
	s_waitcnt lgkmcnt(0)
	v_fmac_f32_e32 v60, v5, v21
	buffer_load_dword v21, off, s[20:23], 0 offset:184 ; 4-byte Folded Reload
	s_nop 0
	buffer_store_dword v60, off, s[20:23], 0 offset:180 ; 4-byte Folded Spill
	v_mov_b32_e32 v60, v61
	buffer_load_dword v61, off, s[20:23], 0 offset:208 ; 4-byte Folded Reload
	s_waitcnt vmcnt(2)
	v_fmac_f32_e32 v21, v5, v22
	buffer_store_dword v21, off, s[20:23], 0 offset:184 ; 4-byte Folded Spill
	buffer_load_dword v21, off, s[20:23], 0 offset:188 ; 4-byte Folded Reload
	s_waitcnt vmcnt(0)
	v_fmac_f32_e32 v21, v5, v23
	buffer_store_dword v21, off, s[20:23], 0 offset:188 ; 4-byte Folded Spill
	;; [unrolled: 4-line block ×3, first 2 shown]
	ds_read_b128 v[21:24], v0 offset:192
	s_waitcnt lgkmcnt(0)
	v_fmac_f32_e32 v60, v5, v21
	buffer_load_dword v21, off, s[20:23], 0 offset:196 ; 4-byte Folded Reload
	s_waitcnt vmcnt(0)
	v_fmac_f32_e32 v21, v5, v22
	buffer_store_dword v21, off, s[20:23], 0 offset:196 ; 4-byte Folded Spill
	buffer_load_dword v21, off, s[20:23], 0 offset:200 ; 4-byte Folded Reload
	s_waitcnt vmcnt(0)
	v_fmac_f32_e32 v21, v5, v23
	buffer_store_dword v21, off, s[20:23], 0 offset:200 ; 4-byte Folded Spill
	;; [unrolled: 4-line block ×3, first 2 shown]
	ds_read_b128 v[21:24], v0 offset:208
	s_waitcnt lgkmcnt(0)
	v_fmac_f32_e32 v61, v5, v21
	buffer_load_dword v21, off, s[20:23], 0 offset:36 ; 4-byte Folded Reload
	s_waitcnt vmcnt(0)
	v_fmac_f32_e32 v21, v5, v22
	buffer_store_dword v21, off, s[20:23], 0 offset:36 ; 4-byte Folded Spill
	buffer_load_dword v21, off, s[20:23], 0 offset:212 ; 4-byte Folded Reload
	s_waitcnt vmcnt(0)
	v_fmac_f32_e32 v21, v5, v23
	buffer_store_dword v21, off, s[20:23], 0 offset:212 ; 4-byte Folded Spill
	buffer_load_dword v21, off, s[20:23], 0 offset:40 ; 4-byte Folded Reload
	s_nop 0
	buffer_store_dword v61, off, s[20:23], 0 offset:208 ; 4-byte Folded Spill
	buffer_load_dword v61, off, s[20:23], 0 offset:300 ; 4-byte Folded Reload
	s_waitcnt vmcnt(2)
	v_fmac_f32_e32 v21, v5, v24
	buffer_store_dword v21, off, s[20:23], 0 offset:40 ; 4-byte Folded Spill
	ds_read_b128 v[21:24], v0 offset:224
	s_waitcnt vmcnt(1) lgkmcnt(0)
	v_fmac_f32_e32 v61, v5, v21
	buffer_load_dword v21, off, s[20:23], 0 offset:216 ; 4-byte Folded Reload
	s_waitcnt vmcnt(0)
	v_fmac_f32_e32 v21, v5, v22
	buffer_store_dword v21, off, s[20:23], 0 offset:216 ; 4-byte Folded Spill
	buffer_load_dword v21, off, s[20:23], 0 offset:220 ; 4-byte Folded Reload
	s_waitcnt vmcnt(0)
	v_fmac_f32_e32 v21, v5, v23
	buffer_store_dword v21, off, s[20:23], 0 offset:220 ; 4-byte Folded Spill
	buffer_load_dword v21, off, s[20:23], 0 offset:224 ; 4-byte Folded Reload
	s_waitcnt vmcnt(0)
	v_fmac_f32_e32 v21, v5, v24
	buffer_store_dword v21, off, s[20:23], 0 offset:224 ; 4-byte Folded Spill
	ds_read_b128 v[21:24], v0 offset:240
	s_waitcnt lgkmcnt(0)
	v_fmac_f32_e32 v57, v5, v21
	buffer_load_dword v21, off, s[20:23], 0 offset:44 ; 4-byte Folded Reload
	s_nop 0
	buffer_store_dword v57, off, s[20:23], 0 offset:228 ; 4-byte Folded Spill
	buffer_load_dword v57, off, s[20:23], 0 offset:280 ; 4-byte Folded Reload
	s_waitcnt vmcnt(2)
	v_fmac_f32_e32 v21, v5, v22
	buffer_store_dword v21, off, s[20:23], 0 offset:44 ; 4-byte Folded Spill
	buffer_load_dword v21, off, s[20:23], 0 offset:48 ; 4-byte Folded Reload
	s_waitcnt vmcnt(0)
	v_fmac_f32_e32 v21, v5, v23
	buffer_store_dword v21, off, s[20:23], 0 offset:48 ; 4-byte Folded Spill
	buffer_load_dword v21, off, s[20:23], 0 offset:52 ; 4-byte Folded Reload
	s_waitcnt vmcnt(0)
	v_fmac_f32_e32 v21, v5, v24
	buffer_store_dword v21, off, s[20:23], 0 offset:52 ; 4-byte Folded Spill
	ds_read_b128 v[21:24], v0 offset:256
	s_waitcnt lgkmcnt(0)
	v_fmac_f32_e32 v57, v5, v21
	buffer_load_dword v21, off, s[20:23], 0 offset:56 ; 4-byte Folded Reload
	s_waitcnt vmcnt(0)
	v_fmac_f32_e32 v21, v5, v22
	buffer_store_dword v21, off, s[20:23], 0 offset:56 ; 4-byte Folded Spill
	buffer_load_dword v21, off, s[20:23], 0 offset:60 ; 4-byte Folded Reload
	s_waitcnt vmcnt(0)
	v_fmac_f32_e32 v21, v5, v23
	buffer_store_dword v21, off, s[20:23], 0 offset:60 ; 4-byte Folded Spill
	buffer_load_dword v21, off, s[20:23], 0 offset:64 ; 4-byte Folded Reload
	s_waitcnt vmcnt(0)
	v_fmac_f32_e32 v21, v5, v24
	buffer_store_dword v21, off, s[20:23], 0 offset:64 ; 4-byte Folded Spill
	ds_read_b128 v[21:24], v0 offset:272
	s_waitcnt lgkmcnt(0)
	v_fmac_f32_e32 v56, v5, v21
	buffer_load_dword v21, off, s[20:23], 0 offset:72 ; 4-byte Folded Reload
	s_nop 0
	buffer_store_dword v56, off, s[20:23], 0 offset:68 ; 4-byte Folded Spill
	buffer_load_dword v56, off, s[20:23], 0 offset:284 ; 4-byte Folded Reload
	s_waitcnt vmcnt(2)
	v_fmac_f32_e32 v21, v5, v22
	buffer_store_dword v21, off, s[20:23], 0 offset:72 ; 4-byte Folded Spill
	buffer_load_dword v21, off, s[20:23], 0 offset:76 ; 4-byte Folded Reload
	s_waitcnt vmcnt(0)
	v_fmac_f32_e32 v21, v5, v23
	buffer_store_dword v21, off, s[20:23], 0 offset:76 ; 4-byte Folded Spill
	buffer_load_dword v21, off, s[20:23], 0 offset:80 ; 4-byte Folded Reload
	s_waitcnt vmcnt(0)
	v_fmac_f32_e32 v21, v5, v24
	buffer_store_dword v21, off, s[20:23], 0 offset:80 ; 4-byte Folded Spill
	ds_read_b128 v[21:24], v0 offset:288
	s_waitcnt lgkmcnt(0)
	;; [unrolled: 33-line block ×5, first 2 shown]
	v_fmac_f32_e32 v53, v5, v21
	v_fmac_f32_e32 v50, v5, v22
	;; [unrolled: 1-line block ×4, first 2 shown]
	ds_read_b128 v[21:24], v0 offset:400
	buffer_store_dword v53, off, s[20:23], 0 offset:348 ; 4-byte Folded Spill
	buffer_store_dword v51, off, s[20:23], 0 offset:352 ; 4-byte Folded Spill
	buffer_store_dword v52, off, s[20:23], 0 offset:356 ; 4-byte Folded Spill
	s_waitcnt lgkmcnt(0)
	v_fmac_f32_e32 v49, v5, v21
	v_fmac_f32_e32 v48, v5, v22
	v_fmac_f32_e32 v47, v5, v23
	v_fmac_f32_e32 v46, v5, v24
	ds_read_b128 v[21:24], v0 offset:416
	buffer_store_dword v49, off, s[20:23], 0 offset:360 ; 4-byte Folded Spill
	buffer_store_dword v48, off, s[20:23], 0 offset:364 ; 4-byte Folded Spill
	buffer_store_dword v47, off, s[20:23], 0 offset:368 ; 4-byte Folded Spill
	buffer_store_dword v46, off, s[20:23], 0 offset:372 ; 4-byte Folded Spill
	s_waitcnt lgkmcnt(0)
	v_fmac_f32_e32 v45, v5, v21
	v_fmac_f32_e32 v42, v5, v22
	v_fmac_f32_e32 v43, v5, v23
	v_fmac_f32_e32 v44, v5, v24
	ds_read_b128 v[21:24], v0 offset:432
	buffer_store_dword v45, off, s[20:23], 0 offset:376 ; 4-byte Folded Spill
	;; [unrolled: 10-line block ×7, first 2 shown]
	buffer_store_dword v20, off, s[20:23], 0 offset:500 ; 4-byte Folded Spill
	buffer_store_dword v19, off, s[20:23], 0 offset:504 ; 4-byte Folded Spill
	;; [unrolled: 1-line block ×3, first 2 shown]
	s_waitcnt lgkmcnt(0)
	v_fma_f32 v5, v16, v21, 0
	v_fmac_f32_e32 v5, v6, v22
	v_fmac_f32_e32 v5, v1, v23
	buffer_load_dword v1, off, s[20:23], 0 offset:308 ; 4-byte Folded Reload
	v_fmac_f32_e32 v5, v17, v24
	ds_read_b128 v[21:24], v0 offset:528
	v_mov_b32_e32 v6, s3
	s_waitcnt vmcnt(0) lgkmcnt(0)
	v_fmac_f32_e32 v5, v1, v21
	buffer_load_dword v1, off, s[20:23], 0 offset:304 ; 4-byte Folded Reload
	v_fmac_f32_e32 v5, v8, v22
	v_fmac_f32_e32 v5, v9, v23
	;; [unrolled: 1-line block ×3, first 2 shown]
	ds_read_b128 v[21:24], v0 offset:544
	s_waitcnt lgkmcnt(0)
	v_fmac_f32_e32 v5, v11, v21
	v_fmac_f32_e32 v5, v12, v22
	;; [unrolled: 1-line block ×4, first 2 shown]
	ds_read_b128 v[21:24], v0 offset:560
	s_waitcnt vmcnt(0) lgkmcnt(0)
	v_fmac_f32_e32 v5, v1, v21
	buffer_load_dword v1, off, s[20:23], 0  ; 4-byte Folded Reload
	v_fmac_f32_e32 v5, v15, v22
	s_waitcnt vmcnt(0)
	v_fmac_f32_e32 v5, v1, v23
	buffer_load_dword v1, off, s[20:23], 0 offset:4 ; 4-byte Folded Reload
	s_waitcnt vmcnt(0)
	v_fmac_f32_e32 v5, v1, v24
	buffer_load_dword v1, off, s[20:23], 0 offset:8 ; 4-byte Folded Reload
	ds_read_b128 v[21:24], v0 offset:576
	s_waitcnt vmcnt(0) lgkmcnt(0)
	v_fmac_f32_e32 v5, v1, v21
	v_mov_b32_e32 v1, v63
	buffer_store_dword v1, off, s[20:23], 0 offset:340 ; 4-byte Folded Spill
	v_fmac_f32_e32 v5, v1, v22
	buffer_load_dword v1, off, s[20:23], 0 offset:12 ; 4-byte Folded Reload
	s_waitcnt vmcnt(0)
	v_fmac_f32_e32 v5, v1, v23
	buffer_load_dword v1, off, s[20:23], 0 offset:16 ; 4-byte Folded Reload
	s_waitcnt vmcnt(0)
	v_fmac_f32_e32 v5, v1, v24
	buffer_load_dword v1, off, s[20:23], 0 offset:20 ; 4-byte Folded Reload
	ds_read_b128 v[21:24], v0 offset:592
	s_waitcnt lgkmcnt(0)
	v_fmac_f32_e32 v5, v2, v21
	s_waitcnt vmcnt(0)
	v_fmac_f32_e32 v5, v1, v22
	buffer_load_dword v1, off, s[20:23], 0 offset:24 ; 4-byte Folded Reload
	s_waitcnt vmcnt(0)
	v_fmac_f32_e32 v5, v1, v23
	buffer_load_dword v1, off, s[20:23], 0 offset:28 ; 4-byte Folded Reload
	;; [unrolled: 3-line block ×3, first 2 shown]
	ds_read_b128 v[21:24], v0 offset:608
	s_waitcnt vmcnt(0) lgkmcnt(0)
	v_fmac_f32_e32 v5, v1, v21
	v_mov_b32_e32 v1, v62
	buffer_store_dword v1, off, s[20:23], 0 offset:476 ; 4-byte Folded Spill
	v_fmac_f32_e32 v5, v1, v22
	buffer_load_dword v1, off, s[20:23], 0 offset:232 ; 4-byte Folded Reload
	s_waitcnt vmcnt(0)
	v_fmac_f32_e32 v5, v1, v23
	buffer_load_dword v1, off, s[20:23], 0 offset:236 ; 4-byte Folded Reload
	s_waitcnt vmcnt(0)
	v_fmac_f32_e32 v5, v1, v24
	buffer_load_dword v1, off, s[20:23], 0 offset:240 ; 4-byte Folded Reload
	ds_read_b128 v[21:24], v0 offset:624
	s_waitcnt lgkmcnt(0)
	v_fmac_f32_e32 v5, v7, v21
	s_waitcnt vmcnt(0)
	v_fmac_f32_e32 v5, v1, v22
	buffer_load_dword v1, off, s[20:23], 0 offset:244 ; 4-byte Folded Reload
	s_waitcnt vmcnt(0)
	v_fmac_f32_e32 v5, v1, v23
	buffer_load_dword v1, off, s[20:23], 0 offset:248 ; 4-byte Folded Reload
	;; [unrolled: 3-line block ×3, first 2 shown]
	ds_read_b128 v[21:24], v0 offset:640
	s_waitcnt vmcnt(0) lgkmcnt(0)
	v_fmac_f32_e32 v5, v1, v21
	v_mov_b32_e32 v1, v58
	buffer_store_dword v1, off, s[20:23], 0 offset:484 ; 4-byte Folded Spill
	v_fmac_f32_e32 v5, v1, v22
	buffer_load_dword v1, off, s[20:23], 0 offset:256 ; 4-byte Folded Reload
	s_waitcnt vmcnt(0)
	v_fmac_f32_e32 v5, v1, v23
	buffer_load_dword v1, off, s[20:23], 0 offset:260 ; 4-byte Folded Reload
	s_waitcnt vmcnt(0)
	v_fmac_f32_e32 v5, v1, v24
	buffer_load_dword v1, off, s[20:23], 0 offset:264 ; 4-byte Folded Reload
	ds_read_b128 v[21:24], v0 offset:656
	s_waitcnt vmcnt(0) lgkmcnt(0)
	v_fmac_f32_e32 v5, v1, v21
	buffer_load_dword v1, off, s[20:23], 0 offset:268 ; 4-byte Folded Reload
	s_waitcnt vmcnt(0)
	v_fmac_f32_e32 v5, v1, v22
	buffer_load_dword v1, off, s[20:23], 0 offset:272 ; 4-byte Folded Reload
	s_waitcnt vmcnt(0)
	v_fmac_f32_e32 v5, v1, v23
	buffer_load_dword v1, off, s[20:23], 0 offset:276 ; 4-byte Folded Reload
	s_waitcnt vmcnt(0)
	v_fmac_f32_e32 v5, v1, v24
	ds_read_b128 v[21:24], v0 offset:672
	v_mov_b32_e32 v1, v59
	buffer_store_dword v1, off, s[20:23], 0 offset:468 ; 4-byte Folded Spill
	s_waitcnt lgkmcnt(0)
	v_fmac_f32_e32 v5, v1, v21
	buffer_load_dword v1, off, s[20:23], 0 offset:168 ; 4-byte Folded Reload
	s_waitcnt vmcnt(0)
	v_fmac_f32_e32 v5, v1, v22
	buffer_load_dword v1, off, s[20:23], 0 offset:172 ; 4-byte Folded Reload
	s_waitcnt vmcnt(0)
	v_fmac_f32_e32 v5, v1, v23
	buffer_load_dword v1, off, s[20:23], 0 offset:176 ; 4-byte Folded Reload
	s_waitcnt vmcnt(0)
	v_fmac_f32_e32 v5, v1, v24
	buffer_load_dword v1, off, s[20:23], 0 offset:180 ; 4-byte Folded Reload
	ds_read_b128 v[21:24], v0 offset:688
	s_waitcnt vmcnt(0) lgkmcnt(0)
	v_fmac_f32_e32 v5, v1, v21
	buffer_load_dword v1, off, s[20:23], 0 offset:184 ; 4-byte Folded Reload
	s_waitcnt vmcnt(0)
	v_fmac_f32_e32 v5, v1, v22
	buffer_load_dword v1, off, s[20:23], 0 offset:188 ; 4-byte Folded Reload
	s_waitcnt vmcnt(0)
	v_fmac_f32_e32 v5, v1, v23
	buffer_load_dword v1, off, s[20:23], 0 offset:192 ; 4-byte Folded Reload
	s_waitcnt vmcnt(0)
	v_fmac_f32_e32 v5, v1, v24
	ds_read_b128 v[21:24], v0 offset:704
	v_mov_b32_e32 v1, v60
	buffer_store_dword v1, off, s[20:23], 0 offset:472 ; 4-byte Folded Spill
	s_waitcnt lgkmcnt(0)
	v_fmac_f32_e32 v5, v1, v21
	buffer_load_dword v1, off, s[20:23], 0 offset:196 ; 4-byte Folded Reload
	s_waitcnt vmcnt(0)
	;; [unrolled: 27-line block ×7, first 2 shown]
	v_fmac_f32_e32 v5, v1, v22
	buffer_load_dword v1, off, s[20:23], 0 offset:144 ; 4-byte Folded Reload
	s_waitcnt vmcnt(0)
	v_fmac_f32_e32 v5, v1, v23
	buffer_load_dword v1, off, s[20:23], 0 offset:148 ; 4-byte Folded Reload
	s_waitcnt vmcnt(0)
	v_fmac_f32_e32 v5, v1, v24
	buffer_load_dword v1, off, s[20:23], 0 offset:152 ; 4-byte Folded Reload
	ds_read_b128 v[21:24], v0 offset:880
	s_waitcnt vmcnt(0) lgkmcnt(0)
	v_fmac_f32_e32 v5, v1, v21
	buffer_load_dword v1, off, s[20:23], 0 offset:156 ; 4-byte Folded Reload
	s_waitcnt vmcnt(0)
	v_fmac_f32_e32 v5, v1, v22
	buffer_load_dword v1, off, s[20:23], 0 offset:160 ; 4-byte Folded Reload
	s_waitcnt vmcnt(0)
	v_fmac_f32_e32 v5, v1, v23
	buffer_load_dword v1, off, s[20:23], 0 offset:164 ; 4-byte Folded Reload
	s_waitcnt vmcnt(0)
	v_fmac_f32_e32 v5, v1, v24
	ds_read_b128 v[21:24], v0 offset:896
	v_mov_b32_e32 v1, v50
	buffer_store_dword v1, off, s[20:23], 0 offset:296 ; 4-byte Folded Spill
	s_waitcnt lgkmcnt(0)
	v_fmac_f32_e32 v5, v53, v21
	v_fmac_f32_e32 v5, v1, v22
	v_fmac_f32_e32 v5, v51, v23
	v_fmac_f32_e32 v5, v52, v24
	ds_read_b128 v[21:24], v0 offset:912
	s_waitcnt lgkmcnt(0)
	v_fmac_f32_e32 v5, v49, v21
	v_fmac_f32_e32 v5, v48, v22
	v_fmac_f32_e32 v5, v47, v23
	v_fmac_f32_e32 v5, v46, v24
	ds_read_b128 v[21:24], v0 offset:928
	;; [unrolled: 6-line block ×7, first 2 shown]
	s_waitcnt lgkmcnt(0)
	v_fmac_f32_e32 v5, v25, v21
	v_fmac_f32_e32 v5, v20, v22
	;; [unrolled: 1-line block ×4, first 2 shown]
	v_add_co_u32_e32 v21, vcc, s2, v3
	v_addc_co_u32_e32 v22, vcc, v6, v4, vcc
	v_mul_f32_e32 v5, s16, v5
	global_store_dword v[21:22], v5, off
	v_add_co_u32_e32 v3, vcc, s6, v3
	v_mov_b32_e32 v5, s7
	v_addc_co_u32_e32 v4, vcc, v4, v5, vcc
	buffer_load_dword v5, off, s[20:23], 0 offset:512 ; 4-byte Folded Reload
	buffer_load_dword v6, off, s[20:23], 0 offset:516 ; 4-byte Folded Reload
	s_waitcnt vmcnt(0)
	v_mov_b32_e32 v6, v5
	v_add_u32_e32 v6, s18, v6
	v_mov_b32_e32 v5, v6
	buffer_store_dword v5, off, s[20:23], 0 offset:512 ; 4-byte Folded Spill
	s_nop 0
	buffer_store_dword v6, off, s[20:23], 0 offset:516 ; 4-byte Folded Spill
	buffer_load_dword v5, off, s[20:23], 0 offset:520 ; 4-byte Folded Reload
	s_waitcnt vmcnt(0)
	v_cmp_ge_i32_e32 vcc, v6, v5
	s_or_b64 s[4:5], vcc, s[4:5]
	s_andn2_b64 exec, exec, s[4:5]
	s_cbranch_execnz .LBB1_2
; %bb.3:
	s_or_b64 exec, exec, s[4:5]
	buffer_load_dword v24, off, s[20:23], 0 offset:508 ; 4-byte Folded Reload
	buffer_load_dword v23, off, s[20:23], 0 offset:504 ; 4-byte Folded Reload
	;; [unrolled: 1-line block ×48, first 2 shown]
.LBB1_4:
	s_or_b64 exec, exec, s[0:1]
	s_mul_i32 s0, s18, s17
	s_waitcnt vmcnt(6)
	v_add_u32_e32 v0, s0, v1
	v_ashrrev_i32_e32 v1, 31, v0
	s_waitcnt vmcnt(5)
	v_lshlrev_b64 v[1:2], 2, v[0:1]
	v_mov_b32_e32 v3, s3
	v_add_co_u32_e32 v1, vcc, s2, v1
	v_addc_co_u32_e32 v2, vcc, v3, v2, vcc
	buffer_load_dword v3, off, s[20:23], 0 offset:316 ; 4-byte Folded Reload
	s_waitcnt vmcnt(0)
	global_store_dword v[1:2], v3, off
	buffer_load_dword v3, off, s[20:23], 0 offset:312 ; 4-byte Folded Reload
	s_waitcnt vmcnt(0)
	global_store_dword v[1:2], v3, off offset:512
	global_store_dword v[1:2], v35, off offset:1024
	global_store_dword v[1:2], v33, off offset:1536
	global_store_dword v[1:2], v31, off offset:2048
	global_store_dword v[1:2], v34, off offset:2560
	global_store_dword v[1:2], v32, off offset:3072
	global_store_dword v[1:2], v30, off offset:3584
	v_add_u32_e32 v1, 0x400, v0
	v_ashrrev_i32_e32 v2, 31, v1
	v_lshlrev_b64 v[1:2], 2, v[1:2]
	v_mov_b32_e32 v3, s3
	v_add_co_u32_e32 v1, vcc, s2, v1
	v_addc_co_u32_e32 v2, vcc, v3, v2, vcc
	buffer_load_dword v3, off, s[20:23], 0 offset:320 ; 4-byte Folded Reload
	s_waitcnt vmcnt(0)
	global_store_dword v[1:2], v3, off
	v_add_u32_e32 v1, 0x480, v0
	v_ashrrev_i32_e32 v2, 31, v1
	v_lshlrev_b64 v[1:2], 2, v[1:2]
	v_mov_b32_e32 v3, s3
	v_add_co_u32_e32 v1, vcc, s2, v1
	v_addc_co_u32_e32 v2, vcc, v3, v2, vcc
	buffer_load_dword v3, off, s[20:23], 0 offset:324 ; 4-byte Folded Reload
	s_waitcnt vmcnt(0)
	global_store_dword v[1:2], v3, off
	;; [unrolled: 9-line block ×6, first 2 shown]
	v_add_u32_e32 v1, 0x700, v0
	v_ashrrev_i32_e32 v2, 31, v1
	v_lshlrev_b64 v[1:2], 2, v[1:2]
	v_mov_b32_e32 v3, s3
	v_add_co_u32_e32 v1, vcc, s2, v1
	v_addc_co_u32_e32 v2, vcc, v3, v2, vcc
	buffer_load_dword v3, off, s[20:23], 0  ; 4-byte Folded Reload
	s_waitcnt vmcnt(0)
	global_store_dword v[1:2], v3, off
	v_add_u32_e32 v1, 0x780, v0
	v_ashrrev_i32_e32 v2, 31, v1
	v_lshlrev_b64 v[1:2], 2, v[1:2]
	v_mov_b32_e32 v3, s3
	v_add_co_u32_e32 v1, vcc, s2, v1
	v_addc_co_u32_e32 v2, vcc, v3, v2, vcc
	buffer_load_dword v3, off, s[20:23], 0 offset:4 ; 4-byte Folded Reload
	s_waitcnt vmcnt(0)
	global_store_dword v[1:2], v3, off
	v_add_u32_e32 v1, 0x800, v0
	v_ashrrev_i32_e32 v2, 31, v1
	v_lshlrev_b64 v[1:2], 2, v[1:2]
	v_mov_b32_e32 v3, s3
	v_add_co_u32_e32 v1, vcc, s2, v1
	v_addc_co_u32_e32 v2, vcc, v3, v2, vcc
	buffer_load_dword v3, off, s[20:23], 0 offset:8 ; 4-byte Folded Reload
	;; [unrolled: 9-line block ×10, first 2 shown]
	s_waitcnt vmcnt(0)
	global_store_dword v[1:2], v3, off
	v_add_u32_e32 v1, 0xc80, v0
	v_ashrrev_i32_e32 v2, 31, v1
	v_lshlrev_b64 v[1:2], 2, v[1:2]
	v_mov_b32_e32 v3, s3
	v_add_co_u32_e32 v1, vcc, s2, v1
	v_addc_co_u32_e32 v2, vcc, v3, v2, vcc
	global_store_dword v[1:2], v49, off
	v_add_u32_e32 v1, 0xd00, v0
	v_ashrrev_i32_e32 v2, 31, v1
	v_lshlrev_b64 v[1:2], 2, v[1:2]
	v_add_co_u32_e32 v1, vcc, s2, v1
	v_addc_co_u32_e32 v2, vcc, v3, v2, vcc
	global_store_dword v[1:2], v50, off
	v_add_u32_e32 v1, 0xd80, v0
	v_ashrrev_i32_e32 v2, 31, v1
	v_lshlrev_b64 v[1:2], 2, v[1:2]
	;; [unrolled: 6-line block ×28, first 2 shown]
	v_add_co_u32_e32 v1, vcc, s2, v1
	v_addc_co_u32_e32 v2, vcc, v3, v2, vcc
	buffer_load_dword v3, off, s[20:23], 0 offset:36 ; 4-byte Folded Reload
	s_waitcnt vmcnt(0)
	global_store_dword v[1:2], v3, off
	v_add_u32_e32 v1, 0x1b00, v0
	v_ashrrev_i32_e32 v2, 31, v1
	v_lshlrev_b64 v[1:2], 2, v[1:2]
	v_mov_b32_e32 v3, s3
	v_add_co_u32_e32 v1, vcc, s2, v1
	v_addc_co_u32_e32 v2, vcc, v3, v2, vcc
	global_store_dword v[1:2], v20, off
	v_add_u32_e32 v1, 0x1b80, v0
	v_ashrrev_i32_e32 v2, 31, v1
	v_lshlrev_b64 v[1:2], 2, v[1:2]
	v_add_co_u32_e32 v1, vcc, s2, v1
	v_addc_co_u32_e32 v2, vcc, v3, v2, vcc
	buffer_load_dword v3, off, s[20:23], 0 offset:40 ; 4-byte Folded Reload
	s_waitcnt vmcnt(0)
	global_store_dword v[1:2], v3, off
	v_add_u32_e32 v1, 0x1c00, v0
	v_ashrrev_i32_e32 v2, 31, v1
	v_lshlrev_b64 v[1:2], 2, v[1:2]
	v_mov_b32_e32 v3, s3
	v_add_co_u32_e32 v1, vcc, s2, v1
	v_addc_co_u32_e32 v2, vcc, v3, v2, vcc
	global_store_dword v[1:2], v25, off
	v_add_u32_e32 v1, 0x1c80, v0
	v_ashrrev_i32_e32 v2, 31, v1
	v_lshlrev_b64 v[1:2], 2, v[1:2]
	v_add_co_u32_e32 v1, vcc, s2, v1
	v_addc_co_u32_e32 v2, vcc, v3, v2, vcc
	global_store_dword v[1:2], v26, off
	v_add_u32_e32 v1, 0x1d00, v0
	v_ashrrev_i32_e32 v2, 31, v1
	v_lshlrev_b64 v[1:2], 2, v[1:2]
	;; [unrolled: 6-line block ×5, first 2 shown]
	v_add_co_u32_e32 v1, vcc, s2, v1
	v_addc_co_u32_e32 v2, vcc, v3, v2, vcc
	buffer_load_dword v3, off, s[20:23], 0 offset:44 ; 4-byte Folded Reload
	s_waitcnt vmcnt(0)
	global_store_dword v[1:2], v3, off
	v_add_u32_e32 v1, 0x1f00, v0
	v_ashrrev_i32_e32 v2, 31, v1
	v_lshlrev_b64 v[1:2], 2, v[1:2]
	v_mov_b32_e32 v3, s3
	v_add_co_u32_e32 v1, vcc, s2, v1
	v_addc_co_u32_e32 v2, vcc, v3, v2, vcc
	buffer_load_dword v3, off, s[20:23], 0 offset:48 ; 4-byte Folded Reload
	s_waitcnt vmcnt(0)
	global_store_dword v[1:2], v3, off
	v_add_u32_e32 v1, 0x1f80, v0
	v_ashrrev_i32_e32 v2, 31, v1
	v_lshlrev_b64 v[1:2], 2, v[1:2]
	v_mov_b32_e32 v3, s3
	;; [unrolled: 9-line block ×61, first 2 shown]
	v_add_co_u32_e32 v1, vcc, s2, v1
	v_addc_co_u32_e32 v2, vcc, v3, v2, vcc
	global_store_dword v[1:2], v5, off
	v_add_u32_e32 v1, 0x3d80, v0
	v_ashrrev_i32_e32 v2, 31, v1
	v_lshlrev_b64 v[1:2], 2, v[1:2]
	v_add_co_u32_e32 v1, vcc, s2, v1
	v_addc_co_u32_e32 v2, vcc, v3, v2, vcc
	global_store_dword v[1:2], v6, off
	v_add_u32_e32 v1, 0x3e00, v0
	v_ashrrev_i32_e32 v2, 31, v1
	v_lshlrev_b64 v[1:2], 2, v[1:2]
	;; [unrolled: 6-line block ×4, first 2 shown]
	v_add_u32_e32 v0, 0x3f80, v0
	v_add_co_u32_e32 v1, vcc, s2, v1
	v_addc_co_u32_e32 v2, vcc, v3, v2, vcc
	global_store_dword v[1:2], v23, off
	v_ashrrev_i32_e32 v1, 31, v0
	v_lshlrev_b64 v[0:1], 2, v[0:1]
	v_mov_b32_e32 v2, s3
	v_add_co_u32_e32 v0, vcc, s2, v0
	v_addc_co_u32_e32 v1, vcc, v2, v1, vcc
	global_store_dword v[0:1], v24, off
	s_endpgm
	.section	.rodata,"a",@progbits
	.p2align	6, 0x0
	.amdhsa_kernel _ZL21gated_linear_attn_f32ILi128EEviiiifPKfS1_S1_S1_S1_Pf
		.amdhsa_group_segment_fixed_size 1536
		.amdhsa_private_segment_fixed_size 540
		.amdhsa_kernarg_size 72
		.amdhsa_user_sgpr_count 6
		.amdhsa_user_sgpr_private_segment_buffer 1
		.amdhsa_user_sgpr_dispatch_ptr 0
		.amdhsa_user_sgpr_queue_ptr 0
		.amdhsa_user_sgpr_kernarg_segment_ptr 1
		.amdhsa_user_sgpr_dispatch_id 0
		.amdhsa_user_sgpr_flat_scratch_init 0
		.amdhsa_user_sgpr_private_segment_size 0
		.amdhsa_uses_dynamic_stack 0
		.amdhsa_system_sgpr_private_segment_wavefront_offset 1
		.amdhsa_system_sgpr_workgroup_id_x 1
		.amdhsa_system_sgpr_workgroup_id_y 0
		.amdhsa_system_sgpr_workgroup_id_z 0
		.amdhsa_system_sgpr_workgroup_info 0
		.amdhsa_system_vgpr_workitem_id 0
		.amdhsa_next_free_vgpr 64
		.amdhsa_next_free_sgpr 24
		.amdhsa_reserve_vcc 1
		.amdhsa_reserve_flat_scratch 0
		.amdhsa_float_round_mode_32 0
		.amdhsa_float_round_mode_16_64 0
		.amdhsa_float_denorm_mode_32 3
		.amdhsa_float_denorm_mode_16_64 3
		.amdhsa_dx10_clamp 1
		.amdhsa_ieee_mode 1
		.amdhsa_fp16_overflow 0
		.amdhsa_exception_fp_ieee_invalid_op 0
		.amdhsa_exception_fp_denorm_src 0
		.amdhsa_exception_fp_ieee_div_zero 0
		.amdhsa_exception_fp_ieee_overflow 0
		.amdhsa_exception_fp_ieee_underflow 0
		.amdhsa_exception_fp_ieee_inexact 0
		.amdhsa_exception_int_div_zero 0
	.end_amdhsa_kernel
	.section	.text._ZL21gated_linear_attn_f32ILi128EEviiiifPKfS1_S1_S1_S1_Pf,"axG",@progbits,_ZL21gated_linear_attn_f32ILi128EEviiiifPKfS1_S1_S1_S1_Pf,comdat
.Lfunc_end1:
	.size	_ZL21gated_linear_attn_f32ILi128EEviiiifPKfS1_S1_S1_S1_Pf, .Lfunc_end1-_ZL21gated_linear_attn_f32ILi128EEviiiifPKfS1_S1_S1_S1_Pf
                                        ; -- End function
	.set _ZL21gated_linear_attn_f32ILi128EEviiiifPKfS1_S1_S1_S1_Pf.num_vgpr, 64
	.set _ZL21gated_linear_attn_f32ILi128EEviiiifPKfS1_S1_S1_S1_Pf.num_agpr, 0
	.set _ZL21gated_linear_attn_f32ILi128EEviiiifPKfS1_S1_S1_S1_Pf.numbered_sgpr, 24
	.set _ZL21gated_linear_attn_f32ILi128EEviiiifPKfS1_S1_S1_S1_Pf.num_named_barrier, 0
	.set _ZL21gated_linear_attn_f32ILi128EEviiiifPKfS1_S1_S1_S1_Pf.private_seg_size, 540
	.set _ZL21gated_linear_attn_f32ILi128EEviiiifPKfS1_S1_S1_S1_Pf.uses_vcc, 1
	.set _ZL21gated_linear_attn_f32ILi128EEviiiifPKfS1_S1_S1_S1_Pf.uses_flat_scratch, 0
	.set _ZL21gated_linear_attn_f32ILi128EEviiiifPKfS1_S1_S1_S1_Pf.has_dyn_sized_stack, 0
	.set _ZL21gated_linear_attn_f32ILi128EEviiiifPKfS1_S1_S1_S1_Pf.has_recursion, 0
	.set _ZL21gated_linear_attn_f32ILi128EEviiiifPKfS1_S1_S1_S1_Pf.has_indirect_call, 0
	.section	.AMDGPU.csdata,"",@progbits
; Kernel info:
; codeLenInByte = 20392
; TotalNumSgprs: 28
; NumVgprs: 64
; ScratchSize: 540
; MemoryBound: 0
; FloatMode: 240
; IeeeMode: 1
; LDSByteSize: 1536 bytes/workgroup (compile time only)
; SGPRBlocks: 3
; VGPRBlocks: 15
; NumSGPRsForWavesPerEU: 28
; NumVGPRsForWavesPerEU: 64
; Occupancy: 4
; WaveLimiterHint : 1
; COMPUTE_PGM_RSRC2:SCRATCH_EN: 1
; COMPUTE_PGM_RSRC2:USER_SGPR: 6
; COMPUTE_PGM_RSRC2:TRAP_HANDLER: 0
; COMPUTE_PGM_RSRC2:TGID_X_EN: 1
; COMPUTE_PGM_RSRC2:TGID_Y_EN: 0
; COMPUTE_PGM_RSRC2:TGID_Z_EN: 0
; COMPUTE_PGM_RSRC2:TIDIG_COMP_CNT: 0
	.section	.AMDGPU.gpr_maximums,"",@progbits
	.set amdgpu.max_num_vgpr, 0
	.set amdgpu.max_num_agpr, 0
	.set amdgpu.max_num_sgpr, 0
	.section	.AMDGPU.csdata,"",@progbits
	.type	__hip_cuid_2e0acd9ba1edeca7,@object ; @__hip_cuid_2e0acd9ba1edeca7
	.section	.bss,"aw",@nobits
	.globl	__hip_cuid_2e0acd9ba1edeca7
__hip_cuid_2e0acd9ba1edeca7:
	.byte	0                               ; 0x0
	.size	__hip_cuid_2e0acd9ba1edeca7, 1

	.ident	"AMD clang version 22.0.0git (https://github.com/RadeonOpenCompute/llvm-project roc-7.2.4 26084 f58b06dce1f9c15707c5f808fd002e18c2accf7e)"
	.section	".note.GNU-stack","",@progbits
	.addrsig
	.addrsig_sym __hip_cuid_2e0acd9ba1edeca7
	.amdgpu_metadata
---
amdhsa.kernels:
  - .args:
      - .offset:         0
        .size:           4
        .value_kind:     by_value
      - .offset:         4
        .size:           4
        .value_kind:     by_value
      - .offset:         8
        .size:           4
        .value_kind:     by_value
      - .offset:         12
        .size:           4
        .value_kind:     by_value
      - .offset:         16
        .size:           4
        .value_kind:     by_value
      - .address_space:  global
        .offset:         24
        .size:           8
        .value_kind:     global_buffer
      - .address_space:  global
        .offset:         32
        .size:           8
        .value_kind:     global_buffer
      - .address_space:  global
        .offset:         40
        .size:           8
        .value_kind:     global_buffer
      - .address_space:  global
        .offset:         48
        .size:           8
        .value_kind:     global_buffer
      - .address_space:  global
        .offset:         56
        .size:           8
        .value_kind:     global_buffer
      - .address_space:  global
        .offset:         64
        .size:           8
        .value_kind:     global_buffer
    .group_segment_fixed_size: 768
    .kernarg_segment_align: 8
    .kernarg_segment_size: 72
    .language:       OpenCL C
    .language_version:
      - 2
      - 0
    .max_flat_workgroup_size: 1024
    .name:           _ZL21gated_linear_attn_f32ILi64EEviiiifPKfS1_S1_S1_S1_Pf
    .private_segment_fixed_size: 196
    .sgpr_count:     28
    .sgpr_spill_count: 0
    .symbol:         _ZL21gated_linear_attn_f32ILi64EEviiiifPKfS1_S1_S1_S1_Pf.kd
    .uniform_work_group_size: 1
    .uses_dynamic_stack: false
    .vgpr_count:     64
    .vgpr_spill_count: 101
    .wavefront_size: 64
  - .args:
      - .offset:         0
        .size:           4
        .value_kind:     by_value
      - .offset:         4
        .size:           4
        .value_kind:     by_value
      - .offset:         8
        .size:           4
        .value_kind:     by_value
      - .offset:         12
        .size:           4
        .value_kind:     by_value
      - .offset:         16
        .size:           4
        .value_kind:     by_value
      - .address_space:  global
        .offset:         24
        .size:           8
        .value_kind:     global_buffer
      - .address_space:  global
        .offset:         32
        .size:           8
        .value_kind:     global_buffer
      - .address_space:  global
        .offset:         40
        .size:           8
        .value_kind:     global_buffer
      - .address_space:  global
        .offset:         48
        .size:           8
        .value_kind:     global_buffer
      - .address_space:  global
        .offset:         56
        .size:           8
        .value_kind:     global_buffer
      - .address_space:  global
        .offset:         64
        .size:           8
        .value_kind:     global_buffer
    .group_segment_fixed_size: 1536
    .kernarg_segment_align: 8
    .kernarg_segment_size: 72
    .language:       OpenCL C
    .language_version:
      - 2
      - 0
    .max_flat_workgroup_size: 1024
    .name:           _ZL21gated_linear_attn_f32ILi128EEviiiifPKfS1_S1_S1_S1_Pf
    .private_segment_fixed_size: 540
    .sgpr_count:     28
    .sgpr_spill_count: 0
    .symbol:         _ZL21gated_linear_attn_f32ILi128EEviiiifPKfS1_S1_S1_S1_Pf.kd
    .uniform_work_group_size: 1
    .uses_dynamic_stack: false
    .vgpr_count:     64
    .vgpr_spill_count: 340
    .wavefront_size: 64
amdhsa.target:   amdgcn-amd-amdhsa--gfx906
amdhsa.version:
  - 1
  - 2
...

	.end_amdgpu_metadata
